;; amdgpu-corpus repo=ROCm/rocFFT kind=compiled arch=gfx906 opt=O3
	.text
	.amdgcn_target "amdgcn-amd-amdhsa--gfx906"
	.amdhsa_code_object_version 6
	.protected	bluestein_single_back_len289_dim1_sp_op_CI_CI ; -- Begin function bluestein_single_back_len289_dim1_sp_op_CI_CI
	.globl	bluestein_single_back_len289_dim1_sp_op_CI_CI
	.p2align	8
	.type	bluestein_single_back_len289_dim1_sp_op_CI_CI,@function
bluestein_single_back_len289_dim1_sp_op_CI_CI: ; @bluestein_single_back_len289_dim1_sp_op_CI_CI
; %bb.0:
	v_mul_u32_u24_e32 v1, 0xf10, v0
	s_load_dwordx4 s[12:15], s[4:5], 0x28
	v_lshrrev_b32_e32 v1, 16, v1
	v_mad_u64_u32 v[64:65], s[0:1], s6, 7, v[1:2]
	v_mov_b32_e32 v65, 0
	s_waitcnt lgkmcnt(0)
	v_cmp_gt_u64_e32 vcc, s[12:13], v[64:65]
	s_and_saveexec_b64 s[0:1], vcc
	s_cbranch_execz .LBB0_2
; %bb.1:
	s_mov_b32 s0, 0x24924925
	v_mul_hi_u32 v2, v64, s0
	s_load_dwordx4 s[0:3], s[4:5], 0x18
	s_load_dwordx4 s[8:11], s[4:5], 0x0
	v_mul_lo_u16_e32 v1, 17, v1
	v_sub_u16_e32 v86, v0, v1
	v_sub_u32_e32 v3, v64, v2
	s_waitcnt lgkmcnt(0)
	s_load_dwordx4 s[16:19], s[0:1], 0x0
	v_lshrrev_b32_e32 v3, 1, v3
	v_add_u32_e32 v2, v3, v2
	v_lshrrev_b32_e32 v2, 2, v2
	v_mul_lo_u32 v14, v2, 7
	s_waitcnt lgkmcnt(0)
	v_mad_u64_u32 v[2:3], s[0:1], s18, v64, 0
	v_mad_u64_u32 v[0:1], s[0:1], s16, v86, 0
	;; [unrolled: 1-line block ×4, first 2 shown]
	v_lshlrev_b64 v[2:3], 3, v[2:3]
	s_add_u32 s6, s8, 0x908
	v_mov_b32_e32 v1, v4
	v_mov_b32_e32 v4, s15
	v_add_co_u32_e32 v2, vcc, s14, v2
	v_lshlrev_b64 v[0:1], 3, v[0:1]
	v_addc_co_u32_e32 v3, vcc, v4, v3, vcc
	v_add_co_u32_e32 v0, vcc, v2, v0
	s_mul_i32 s0, s17, 0x88
	s_mul_hi_u32 s1, s16, 0x88
	s_addc_u32 s7, s9, 0
	v_addc_co_u32_e32 v1, vcc, v3, v1, vcc
	s_add_i32 s0, s1, s0
	s_mul_i32 s1, s16, 0x88
	global_load_dwordx2 v[2:3], v[0:1], off
	v_mov_b32_e32 v4, s0
	v_add_co_u32_e32 v0, vcc, s1, v0
	v_addc_co_u32_e32 v1, vcc, v1, v4, vcc
	v_mov_b32_e32 v5, s0
	v_add_co_u32_e32 v4, vcc, s1, v0
	v_addc_co_u32_e32 v5, vcc, v1, v5, vcc
	;; [unrolled: 3-line block ×3, first 2 shown]
	v_mov_b32_e32 v9, s0
	v_add_co_u32_e32 v8, vcc, s1, v6
	v_lshlrev_b32_e32 v34, 3, v86
	v_addc_co_u32_e32 v9, vcc, v7, v9, vcc
	global_load_dwordx2 v[81:82], v34, s[8:9]
	global_load_dwordx2 v[79:80], v34, s[8:9] offset:136
	global_load_dwordx2 v[75:76], v34, s[8:9] offset:272
	;; [unrolled: 1-line block ×3, first 2 shown]
	global_load_dwordx2 v[10:11], v[0:1], off
	global_load_dwordx2 v[12:13], v[4:5], off
	global_load_dwordx2 v[15:16], v[6:7], off
	global_load_dwordx2 v[17:18], v[8:9], off
	v_mov_b32_e32 v1, s0
	v_add_co_u32_e32 v0, vcc, s1, v8
	v_addc_co_u32_e32 v1, vcc, v9, v1, vcc
	global_load_dwordx2 v[4:5], v[0:1], off
	v_mov_b32_e32 v6, s0
	v_add_co_u32_e32 v0, vcc, s1, v0
	v_addc_co_u32_e32 v1, vcc, v1, v6, vcc
	global_load_dwordx2 v[6:7], v[0:1], off
	;; [unrolled: 4-line block ×3, first 2 shown]
	global_load_dwordx2 v[77:78], v34, s[8:9] offset:544
	global_load_dwordx2 v[73:74], v34, s[8:9] offset:680
	;; [unrolled: 1-line block ×4, first 2 shown]
	v_mov_b32_e32 v19, s0
	v_add_co_u32_e32 v0, vcc, s1, v0
	v_addc_co_u32_e32 v1, vcc, v1, v19, vcc
	global_load_dwordx2 v[19:20], v[0:1], off
	v_mov_b32_e32 v21, s0
	v_add_co_u32_e32 v0, vcc, s1, v0
	v_addc_co_u32_e32 v1, vcc, v1, v21, vcc
	global_load_dwordx2 v[21:22], v[0:1], off
	;; [unrolled: 4-line block ×4, first 2 shown]
	global_load_dwordx2 v[69:70], v34, s[8:9] offset:1088
	global_load_dwordx2 v[65:66], v34, s[8:9] offset:1224
	;; [unrolled: 1-line block ×4, first 2 shown]
	v_mov_b32_e32 v27, s0
	v_add_co_u32_e32 v0, vcc, s1, v0
	v_addc_co_u32_e32 v1, vcc, v1, v27, vcc
	global_load_dwordx2 v[27:28], v[0:1], off
	v_mov_b32_e32 v29, s0
	v_add_co_u32_e32 v0, vcc, s1, v0
	v_addc_co_u32_e32 v1, vcc, v1, v29, vcc
	global_load_dwordx2 v[29:30], v[0:1], off
	global_load_dwordx2 v[58:59], v34, s[8:9] offset:1632
	global_load_dwordx2 v[52:53], v34, s[8:9] offset:1768
	v_mov_b32_e32 v31, s0
	v_add_co_u32_e32 v0, vcc, s1, v0
	v_addc_co_u32_e32 v1, vcc, v1, v31, vcc
	global_load_dwordx2 v[31:32], v[0:1], off
	v_mov_b32_e32 v33, s0
	v_add_co_u32_e32 v0, vcc, s1, v0
	v_addc_co_u32_e32 v1, vcc, v1, v33, vcc
	global_load_dwordx2 v[54:55], v34, s[8:9] offset:1904
	global_load_dwordx2 v[35:36], v[0:1], off
	global_load_dwordx2 v[50:51], v34, s[8:9] offset:2040
	v_add_co_u32_e32 v0, vcc, s1, v0
	v_addc_co_u32_e32 v1, vcc, v1, v33, vcc
	global_load_dwordx2 v[37:38], v[0:1], off
	global_load_dwordx2 v[48:49], v34, s[8:9] offset:2176
	v_sub_u32_e32 v0, v64, v14
	v_mul_u32_u24_e32 v1, 0x121, v0
	v_lshlrev_b32_e32 v14, 3, v1
	v_add_u32_e32 v85, v34, v14
	s_waitcnt vmcnt(32)
	v_mul_f32_e32 v0, v3, v82
	v_mul_f32_e32 v1, v2, v82
	v_fmac_f32_e32 v0, v2, v81
	v_fma_f32 v1, v3, v81, -v1
	s_waitcnt vmcnt(28)
	v_mul_f32_e32 v2, v11, v80
	v_mul_f32_e32 v3, v10, v80
	v_fmac_f32_e32 v2, v10, v79
	v_fma_f32 v3, v11, v79, -v3
	ds_write2_b64 v85, v[0:1], v[2:3] offset1:17
	s_waitcnt vmcnt(27)
	v_mul_f32_e32 v0, v13, v76
	v_mul_f32_e32 v1, v12, v76
	s_waitcnt vmcnt(26)
	v_mul_f32_e32 v2, v16, v72
	v_mul_f32_e32 v3, v15, v72
	v_fmac_f32_e32 v0, v12, v75
	v_fma_f32 v1, v13, v75, -v1
	v_fmac_f32_e32 v2, v15, v71
	v_fma_f32 v3, v16, v71, -v3
	ds_write2_b64 v85, v[0:1], v[2:3] offset0:34 offset1:51
	s_load_dwordx4 s[0:3], s[2:3], 0x0
	s_waitcnt vmcnt(21)
	v_mul_f32_e32 v0, v18, v78
	v_mul_f32_e32 v1, v17, v78
	s_waitcnt vmcnt(20)
	v_mul_f32_e32 v2, v5, v74
	v_mul_f32_e32 v3, v4, v74
	v_fmac_f32_e32 v0, v17, v77
	v_fma_f32 v1, v18, v77, -v1
	v_fmac_f32_e32 v2, v4, v73
	v_fma_f32 v3, v5, v73, -v3
	ds_write2_b64 v85, v[0:1], v[2:3] offset0:68 offset1:85
	s_waitcnt vmcnt(19)
	v_mul_f32_e32 v0, v7, v68
	v_mul_f32_e32 v1, v6, v68
	s_waitcnt vmcnt(18)
	v_mul_f32_e32 v2, v9, v63
	v_mul_f32_e32 v3, v8, v63
	v_fmac_f32_e32 v0, v6, v67
	v_fma_f32 v1, v7, v67, -v1
	v_fmac_f32_e32 v2, v8, v62
	v_fma_f32 v3, v9, v62, -v3
	ds_write2_b64 v85, v[0:1], v[2:3] offset0:102 offset1:119
	s_mov_b32 s16, 0x3f6eb680
	s_mov_b32 s14, 0x3f3d2fb0
	;; [unrolled: 1-line block ×6, first 2 shown]
	s_waitcnt vmcnt(13)
	v_mul_f32_e32 v0, v20, v70
	v_mul_f32_e32 v1, v19, v70
	s_waitcnt vmcnt(12)
	v_mul_f32_e32 v2, v22, v66
	v_mul_f32_e32 v3, v21, v66
	v_fmac_f32_e32 v0, v19, v69
	v_fma_f32 v1, v20, v69, -v1
	v_fmac_f32_e32 v2, v21, v65
	v_fma_f32 v3, v22, v65, -v3
	ds_write2_b64 v85, v[0:1], v[2:3] offset0:136 offset1:153
	s_waitcnt vmcnt(11)
	v_mul_f32_e32 v0, v24, v61
	v_mul_f32_e32 v1, v23, v61
	s_waitcnt vmcnt(10)
	v_mul_f32_e32 v2, v26, v57
	v_mul_f32_e32 v3, v25, v57
	v_fmac_f32_e32 v0, v23, v60
	v_fma_f32 v1, v24, v60, -v1
	v_fmac_f32_e32 v2, v25, v56
	v_fma_f32 v3, v26, v56, -v3
	ds_write2_b64 v85, v[0:1], v[2:3] offset0:170 offset1:187
	;; [unrolled: 11-line block ×4, first 2 shown]
	s_waitcnt vmcnt(0)
	v_mul_f32_e32 v0, v38, v49
	v_mul_f32_e32 v1, v37, v49
	v_fmac_f32_e32 v0, v37, v48
	v_fma_f32 v1, v38, v48, -v1
	ds_write_b64 v85, v[0:1] offset:2176
	s_waitcnt lgkmcnt(0)
	s_barrier
	ds_read2_b64 v[15:18], v85 offset1:17
	ds_read2_b64 v[19:22], v85 offset0:34 offset1:51
	ds_read2_b64 v[23:26], v85 offset0:68 offset1:85
	;; [unrolled: 1-line block ×7, first 2 shown]
	ds_read_b64 v[31:32], v85 offset:2176
	s_waitcnt lgkmcnt(8)
	v_add_f32_e32 v12, v15, v17
	v_add_f32_e32 v13, v16, v18
	s_waitcnt lgkmcnt(7)
	v_add_f32_e32 v12, v12, v19
	v_add_f32_e32 v13, v13, v20
	v_add_f32_e32 v12, v12, v21
	v_add_f32_e32 v13, v13, v22
	s_waitcnt lgkmcnt(6)
	v_add_f32_e32 v12, v12, v23
	v_add_f32_e32 v13, v13, v24
	;; [unrolled: 5-line block ×7, first 2 shown]
	v_add_f32_e32 v12, v12, v37
	s_waitcnt lgkmcnt(0)
	v_add_f32_e32 v33, v31, v17
	v_add_f32_e32 v39, v32, v18
	v_sub_f32_e32 v17, v17, v31
	v_sub_f32_e32 v18, v18, v32
	v_add_f32_e32 v13, v13, v38
	v_add_f32_e32 v12, v12, v31
	v_mul_f32_e32 v31, 0xbeb8f4ab, v18
	v_mul_f32_e32 v40, 0xbeb8f4ab, v17
	;; [unrolled: 1-line block ×13, first 2 shown]
	s_mov_b32 s18, 0xbf59a7d5
	v_mul_f32_e32 v101, 0xbf06c442, v17
	v_mul_f32_e32 v18, 0xbe3c28d5, v18
	s_mov_b32 s19, 0xbf7ba420
	v_mul_f32_e32 v17, 0xbe3c28d5, v17
	v_add_f32_e32 v13, v13, v32
	v_fma_f32 v32, v33, s16, -v31
	v_fmac_f32_e32 v31, 0x3f6eb680, v33
	v_fma_f32 v43, v33, s14, -v42
	v_fmac_f32_e32 v42, 0x3f3d2fb0, v33
	v_fma_f32 v47, v33, s13, -v46
	v_fmac_f32_e32 v46, 0x3ee437d1, v33
	v_fma_f32 v88, v33, s12, -v87
	v_fmac_f32_e32 v87, 0x3dbcf732, v33
	v_fma_f32 v92, v33, s15, -v91
	v_fmac_f32_e32 v91, 0xbe8c1d8e, v33
	v_fma_f32 v96, v33, s17, -v95
	v_fmac_f32_e32 v95, 0xbf1a4643, v33
	v_fma_f32 v100, v33, s18, -v99
	v_fmac_f32_e32 v99, 0xbf59a7d5, v33
	v_fma_f32 v103, v33, s19, -v18
	v_mov_b32_e32 v104, v17
	v_fmac_f32_e32 v18, 0xbf7ba420, v33
	v_add_f32_e32 v32, v15, v32
	v_fma_f32 v41, v39, s16, -v40
	v_fmac_f32_e32 v40, 0x3f6eb680, v39
	v_add_f32_e32 v31, v15, v31
	v_add_f32_e32 v43, v15, v43
	v_fma_f32 v45, v39, s14, -v44
	v_fmac_f32_e32 v44, 0x3f3d2fb0, v39
	v_add_f32_e32 v42, v15, v42
	;; [unrolled: 4-line block ×7, first 2 shown]
	v_add_f32_e32 v103, v15, v103
	v_fmac_f32_e32 v104, 0xbf7ba420, v39
	v_add_f32_e32 v15, v15, v18
	v_fma_f32 v17, v39, s19, -v17
	v_add_f32_e32 v18, v38, v20
	v_sub_f32_e32 v20, v20, v38
	v_add_f32_e32 v40, v16, v40
	v_add_f32_e32 v41, v16, v41
	;; [unrolled: 1-line block ×17, first 2 shown]
	v_mul_f32_e32 v33, 0xbf2c7751, v20
	v_sub_f32_e32 v19, v19, v37
	v_fma_f32 v37, v17, s14, -v33
	v_add_f32_e32 v32, v37, v32
	v_mul_f32_e32 v37, 0xbf2c7751, v19
	v_fma_f32 v38, v18, s14, -v37
	v_fmac_f32_e32 v33, 0x3f3d2fb0, v17
	v_add_f32_e32 v31, v33, v31
	v_add_f32_e32 v33, v38, v41
	v_mul_f32_e32 v38, 0xbf7ee86f, v20
	v_fmac_f32_e32 v37, 0x3f3d2fb0, v18
	v_fma_f32 v39, v17, s12, -v38
	v_fmac_f32_e32 v38, 0x3dbcf732, v17
	v_add_f32_e32 v37, v37, v40
	v_mul_f32_e32 v40, 0xbf7ee86f, v19
	v_add_f32_e32 v38, v38, v42
	v_mul_f32_e32 v42, 0xbf4c4adb, v20
	v_add_f32_e32 v39, v39, v43
	v_fma_f32 v41, v18, s12, -v40
	v_fmac_f32_e32 v40, 0x3dbcf732, v18
	v_fma_f32 v43, v17, s17, -v42
	v_fmac_f32_e32 v42, 0xbf1a4643, v17
	v_add_f32_e32 v40, v40, v44
	v_mul_f32_e32 v44, 0xbf4c4adb, v19
	v_add_f32_e32 v42, v42, v46
	v_mul_f32_e32 v46, 0xbe3c28d5, v20
	v_add_f32_e32 v41, v41, v45
	v_add_f32_e32 v43, v43, v47
	v_fma_f32 v45, v18, s17, -v44
	v_fmac_f32_e32 v44, 0xbf1a4643, v18
	v_fma_f32 v47, v17, s19, -v46
	v_fmac_f32_e32 v46, 0xbf7ba420, v17
	v_add_f32_e32 v44, v44, v83
	v_mul_f32_e32 v83, 0xbe3c28d5, v19
	v_add_f32_e32 v46, v46, v87
	v_mul_f32_e32 v87, 0x3f06c442, v20
	v_add_f32_e32 v45, v45, v84
	v_add_f32_e32 v47, v47, v88
	v_fma_f32 v84, v18, s19, -v83
	v_fmac_f32_e32 v83, 0xbf7ba420, v18
	v_fma_f32 v88, v17, s18, -v87
	v_fmac_f32_e32 v87, 0xbf59a7d5, v17
	v_add_f32_e32 v83, v83, v89
	v_mul_f32_e32 v89, 0x3f06c442, v19
	v_add_f32_e32 v87, v87, v91
	v_mul_f32_e32 v91, 0x3f763a35, v20
	v_add_f32_e32 v84, v84, v90
	v_add_f32_e32 v88, v88, v92
	v_fma_f32 v90, v18, s18, -v89
	v_fmac_f32_e32 v89, 0xbf59a7d5, v18
	v_fma_f32 v92, v17, s15, -v91
	v_fmac_f32_e32 v91, 0xbe8c1d8e, v17
	v_add_f32_e32 v89, v89, v93
	v_mul_f32_e32 v93, 0x3f763a35, v19
	v_add_f32_e32 v91, v91, v95
	v_mul_f32_e32 v95, 0x3f65296c, v20
	v_add_f32_e32 v90, v90, v94
	v_add_f32_e32 v92, v92, v96
	v_fma_f32 v94, v18, s15, -v93
	v_fmac_f32_e32 v93, 0xbe8c1d8e, v18
	v_fma_f32 v96, v17, s13, -v95
	v_fmac_f32_e32 v95, 0x3ee437d1, v17
	v_mul_f32_e32 v20, 0x3eb8f4ab, v20
	v_add_f32_e32 v93, v93, v97
	v_mul_f32_e32 v97, 0x3f65296c, v19
	v_add_f32_e32 v95, v95, v99
	v_fma_f32 v99, v17, s16, -v20
	v_mul_f32_e32 v19, 0x3eb8f4ab, v19
	v_fmac_f32_e32 v20, 0x3f6eb680, v17
	v_add_f32_e32 v15, v20, v15
	v_fma_f32 v17, v18, s16, -v19
	v_sub_f32_e32 v20, v22, v36
	v_add_f32_e32 v96, v96, v100
	v_mov_b32_e32 v100, v19
	v_add_f32_e32 v16, v17, v16
	v_add_f32_e32 v17, v35, v21
	v_sub_f32_e32 v19, v21, v35
	v_mul_f32_e32 v21, 0xbf65296c, v20
	v_add_f32_e32 v94, v94, v98
	v_fma_f32 v98, v18, s13, -v97
	v_fmac_f32_e32 v97, 0x3ee437d1, v18
	v_fmac_f32_e32 v100, 0x3f6eb680, v18
	v_add_f32_e32 v18, v36, v22
	v_fma_f32 v22, v17, s13, -v21
	v_add_f32_e32 v22, v22, v32
	v_mul_f32_e32 v32, 0xbf65296c, v19
	v_fma_f32 v35, v18, s13, -v32
	v_fmac_f32_e32 v21, 0x3ee437d1, v17
	v_add_f32_e32 v21, v21, v31
	v_add_f32_e32 v31, v35, v33
	v_mul_f32_e32 v33, 0xbf4c4adb, v20
	v_fma_f32 v35, v17, s17, -v33
	v_fmac_f32_e32 v33, 0xbf1a4643, v17
	v_fmac_f32_e32 v32, 0x3ee437d1, v18
	v_mul_f32_e32 v36, 0xbf4c4adb, v19
	v_add_f32_e32 v33, v33, v38
	v_mul_f32_e32 v38, 0x3e3c28d5, v20
	v_add_f32_e32 v32, v32, v37
	v_add_f32_e32 v35, v35, v39
	v_fma_f32 v37, v18, s17, -v36
	v_fmac_f32_e32 v36, 0xbf1a4643, v18
	v_fma_f32 v39, v17, s19, -v38
	v_fmac_f32_e32 v38, 0xbf7ba420, v17
	v_add_f32_e32 v36, v36, v40
	v_mul_f32_e32 v40, 0x3e3c28d5, v19
	v_add_f32_e32 v38, v38, v42
	v_mul_f32_e32 v42, 0x3f763a35, v20
	v_add_f32_e32 v37, v37, v41
	v_add_f32_e32 v39, v39, v43
	v_fma_f32 v41, v18, s19, -v40
	v_fmac_f32_e32 v40, 0xbf7ba420, v18
	v_fma_f32 v43, v17, s15, -v42
	v_fmac_f32_e32 v42, 0xbe8c1d8e, v17
	v_add_f32_e32 v40, v40, v44
	v_mul_f32_e32 v44, 0x3f763a35, v19
	v_add_f32_e32 v42, v42, v46
	v_mul_f32_e32 v46, 0x3f2c7751, v20
	v_add_f32_e32 v41, v41, v45
	v_add_f32_e32 v43, v43, v47
	v_fma_f32 v45, v18, s15, -v44
	v_fmac_f32_e32 v44, 0xbe8c1d8e, v18
	v_fma_f32 v47, v17, s14, -v46
	v_fmac_f32_e32 v46, 0x3f3d2fb0, v17
	v_add_f32_e32 v44, v44, v83
	v_mul_f32_e32 v83, 0x3f2c7751, v19
	v_add_f32_e32 v46, v46, v87
	v_mul_f32_e32 v87, 0xbeb8f4ab, v20
	v_add_f32_e32 v45, v45, v84
	v_add_f32_e32 v47, v47, v88
	v_fma_f32 v84, v18, s14, -v83
	v_fmac_f32_e32 v83, 0x3f3d2fb0, v18
	v_fma_f32 v88, v17, s16, -v87
	v_fmac_f32_e32 v87, 0x3f6eb680, v17
	v_add_f32_e32 v83, v83, v89
	v_mul_f32_e32 v89, 0xbeb8f4ab, v19
	v_add_f32_e32 v87, v87, v91
	v_mul_f32_e32 v91, 0xbf7ee86f, v20
	v_add_f32_e32 v84, v84, v90
	v_add_f32_e32 v88, v88, v92
	v_fma_f32 v90, v18, s16, -v89
	v_fmac_f32_e32 v89, 0x3f6eb680, v18
	v_fma_f32 v92, v17, s12, -v91
	v_fmac_f32_e32 v91, 0x3dbcf732, v17
	v_mul_f32_e32 v20, 0xbf06c442, v20
	v_add_f32_e32 v89, v89, v93
	v_mul_f32_e32 v93, 0xbf7ee86f, v19
	v_add_f32_e32 v91, v91, v95
	v_fma_f32 v95, v17, s18, -v20
	v_mul_f32_e32 v19, 0xbf06c442, v19
	v_fmac_f32_e32 v20, 0xbf59a7d5, v17
	v_add_f32_e32 v15, v20, v15
	v_fma_f32 v17, v18, s18, -v19
	v_sub_f32_e32 v20, v24, v30
	v_add_f32_e32 v92, v92, v96
	v_mov_b32_e32 v96, v19
	v_add_f32_e32 v16, v17, v16
	v_add_f32_e32 v17, v29, v23
	v_sub_f32_e32 v19, v23, v29
	v_mul_f32_e32 v23, 0xbf7ee86f, v20
	v_add_f32_e32 v90, v90, v94
	v_fma_f32 v94, v18, s12, -v93
	v_fmac_f32_e32 v93, 0x3dbcf732, v18
	v_fmac_f32_e32 v96, 0xbf59a7d5, v18
	v_add_f32_e32 v18, v30, v24
	v_fma_f32 v24, v17, s12, -v23
	v_add_f32_e32 v22, v24, v22
	v_mul_f32_e32 v24, 0xbf7ee86f, v19
	v_fma_f32 v29, v18, s12, -v24
	v_fmac_f32_e32 v23, 0x3dbcf732, v17
	v_add_f32_e32 v21, v23, v21
	v_add_f32_e32 v23, v29, v31
	v_mul_f32_e32 v29, 0xbe3c28d5, v20
	v_fma_f32 v30, v17, s19, -v29
	v_fmac_f32_e32 v29, 0xbf7ba420, v17
	v_fmac_f32_e32 v24, 0x3dbcf732, v18
	v_mul_f32_e32 v31, 0xbe3c28d5, v19
	v_add_f32_e32 v29, v29, v33
	v_mul_f32_e32 v33, 0x3f763a35, v20
	v_add_f32_e32 v24, v24, v32
	v_add_f32_e32 v30, v30, v35
	v_fma_f32 v32, v18, s19, -v31
	v_fmac_f32_e32 v31, 0xbf7ba420, v18
	v_fma_f32 v35, v17, s15, -v33
	v_fmac_f32_e32 v33, 0xbe8c1d8e, v17
	v_add_f32_e32 v31, v31, v36
	v_mul_f32_e32 v36, 0x3f763a35, v19
	v_add_f32_e32 v33, v33, v38
	v_mul_f32_e32 v38, 0x3eb8f4ab, v20
	v_add_f32_e32 v32, v32, v37
	v_add_f32_e32 v35, v35, v39
	v_fma_f32 v37, v18, s15, -v36
	v_fmac_f32_e32 v36, 0xbe8c1d8e, v18
	v_fma_f32 v39, v17, s16, -v38
	v_fmac_f32_e32 v38, 0x3f6eb680, v17
	v_add_f32_e32 v36, v36, v40
	;; [unrolled: 10-line block ×4, first 2 shown]
	v_mul_f32_e32 v83, 0xbf06c442, v19
	v_add_f32_e32 v46, v46, v87
	v_mul_f32_e32 v87, 0x3f4c4adb, v20
	v_add_f32_e32 v45, v45, v84
	v_add_f32_e32 v47, v47, v88
	v_fma_f32 v84, v18, s18, -v83
	v_fmac_f32_e32 v83, 0xbf59a7d5, v18
	v_fma_f32 v88, v17, s17, -v87
	v_fmac_f32_e32 v87, 0xbf1a4643, v17
	v_mul_f32_e32 v20, 0x3f2c7751, v20
	v_add_f32_e32 v83, v83, v89
	v_mul_f32_e32 v89, 0x3f4c4adb, v19
	v_add_f32_e32 v87, v87, v91
	v_fma_f32 v91, v17, s14, -v20
	v_mul_f32_e32 v19, 0x3f2c7751, v19
	v_fmac_f32_e32 v20, 0x3f3d2fb0, v17
	v_add_f32_e32 v15, v20, v15
	v_fma_f32 v17, v18, s14, -v19
	v_sub_f32_e32 v20, v26, v28
	v_add_f32_e32 v88, v88, v92
	v_mov_b32_e32 v92, v19
	v_add_f32_e32 v16, v17, v16
	v_add_f32_e32 v17, v27, v25
	v_sub_f32_e32 v19, v25, v27
	v_mul_f32_e32 v25, 0xbf763a35, v20
	v_add_f32_e32 v84, v84, v90
	v_fma_f32 v90, v18, s17, -v89
	v_fmac_f32_e32 v89, 0xbf1a4643, v18
	v_fmac_f32_e32 v92, 0x3f3d2fb0, v18
	v_add_f32_e32 v18, v28, v26
	v_fma_f32 v26, v17, s15, -v25
	v_add_f32_e32 v22, v26, v22
	v_mul_f32_e32 v26, 0xbf763a35, v19
	v_fmac_f32_e32 v25, 0xbe8c1d8e, v17
	v_fma_f32 v27, v18, s15, -v26
	v_fmac_f32_e32 v26, 0xbe8c1d8e, v18
	v_add_f32_e32 v21, v25, v21
	v_mul_f32_e32 v25, 0x3f06c442, v20
	v_add_f32_e32 v24, v26, v24
	v_add_f32_e32 v23, v27, v23
	v_fma_f32 v26, v17, s18, -v25
	v_mul_f32_e32 v27, 0x3f06c442, v19
	v_fmac_f32_e32 v25, 0xbf59a7d5, v17
	v_fma_f32 v28, v18, s18, -v27
	v_fmac_f32_e32 v27, 0xbf59a7d5, v18
	v_add_f32_e32 v25, v25, v29
	v_mul_f32_e32 v29, 0x3f2c7751, v20
	v_add_f32_e32 v26, v26, v30
	v_add_f32_e32 v27, v27, v31
	v_fma_f32 v30, v17, s14, -v29
	v_mul_f32_e32 v31, 0x3f2c7751, v19
	v_fmac_f32_e32 v29, 0x3f3d2fb0, v17
	v_add_f32_e32 v28, v28, v32
	v_fma_f32 v32, v18, s14, -v31
	v_fmac_f32_e32 v31, 0x3f3d2fb0, v18
	v_add_f32_e32 v29, v29, v33
	v_mul_f32_e32 v33, 0xbf65296c, v20
	v_add_f32_e32 v30, v30, v35
	v_add_f32_e32 v31, v31, v36
	v_fma_f32 v35, v17, s13, -v33
	v_mul_f32_e32 v36, 0xbf65296c, v19
	v_fmac_f32_e32 v33, 0x3ee437d1, v17
	v_add_f32_e32 v32, v32, v37
	;; [unrolled: 10-line block ×4, first 2 shown]
	v_fma_f32 v45, v18, s12, -v44
	v_fmac_f32_e32 v44, 0x3dbcf732, v18
	v_add_f32_e32 v42, v42, v46
	v_mul_f32_e32 v46, 0xbeb8f4ab, v20
	v_add_f32_e32 v43, v43, v47
	v_add_f32_e32 v44, v44, v83
	v_fma_f32 v47, v17, s16, -v46
	v_mul_f32_e32 v83, 0xbeb8f4ab, v19
	v_mul_f32_e32 v19, 0xbf4c4adb, v19
	v_add_f32_e32 v47, v47, v88
	v_fmac_f32_e32 v46, 0x3f6eb680, v17
	v_mul_f32_e32 v20, 0xbf4c4adb, v20
	v_mov_b32_e32 v88, v19
	v_add_f32_e32 v45, v45, v84
	v_fma_f32 v84, v18, s16, -v83
	v_fmac_f32_e32 v83, 0x3f6eb680, v18
	v_add_f32_e32 v46, v46, v87
	v_fma_f32 v87, v17, s17, -v20
	v_fmac_f32_e32 v88, 0xbf1a4643, v18
	v_fmac_f32_e32 v20, 0xbf1a4643, v17
	v_fma_f32 v17, v18, s17, -v19
	v_add_f32_e32 v18, v11, v5
	v_sub_f32_e32 v5, v5, v11
	v_add_f32_e32 v16, v17, v16
	v_add_f32_e32 v17, v10, v4
	v_sub_f32_e32 v4, v4, v10
	v_mul_f32_e32 v10, 0xbf4c4adb, v5
	v_fma_f32 v11, v17, s17, -v10
	v_mul_f32_e32 v19, 0xbf4c4adb, v4
	v_fmac_f32_e32 v10, 0xbf1a4643, v17
	v_add_f32_e32 v15, v20, v15
	v_fma_f32 v20, v18, s17, -v19
	v_add_f32_e32 v10, v10, v21
	v_mul_f32_e32 v21, 0x3f763a35, v5
	v_add_f32_e32 v11, v11, v22
	v_fmac_f32_e32 v19, 0xbf1a4643, v18
	v_add_f32_e32 v20, v20, v23
	v_fma_f32 v22, v17, s15, -v21
	v_mul_f32_e32 v23, 0x3f763a35, v4
	v_fmac_f32_e32 v21, 0xbe8c1d8e, v17
	v_add_f32_e32 v19, v19, v24
	v_fma_f32 v24, v18, s15, -v23
	v_fmac_f32_e32 v23, 0xbe8c1d8e, v18
	v_add_f32_e32 v21, v21, v25
	v_mul_f32_e32 v25, 0xbeb8f4ab, v5
	v_add_f32_e32 v22, v22, v26
	v_add_f32_e32 v23, v23, v27
	v_fma_f32 v26, v17, s16, -v25
	v_mul_f32_e32 v27, 0xbeb8f4ab, v4
	v_fmac_f32_e32 v25, 0x3f6eb680, v17
	v_add_f32_e32 v24, v24, v28
	v_fma_f32 v28, v18, s16, -v27
	v_fmac_f32_e32 v27, 0x3f6eb680, v18
	v_add_f32_e32 v25, v25, v29
	v_mul_f32_e32 v29, 0xbf06c442, v5
	v_add_f32_e32 v26, v26, v30
	;; [unrolled: 10-line block ×5, first 2 shown]
	v_add_f32_e32 v40, v40, v44
	v_fma_f32 v43, v17, s19, -v42
	v_mul_f32_e32 v44, 0xbe3c28d5, v4
	v_mul_f32_e32 v4, 0x3f65296c, v4
	v_add_f32_e32 v43, v43, v47
	v_fmac_f32_e32 v42, 0xbf7ba420, v17
	v_mul_f32_e32 v5, 0x3f65296c, v5
	v_mov_b32_e32 v47, v4
	v_fma_f32 v4, v18, s13, -v4
	v_add_f32_e32 v42, v42, v46
	v_fma_f32 v46, v17, s13, -v5
	v_fmac_f32_e32 v5, 0x3ee437d1, v17
	v_add_f32_e32 v4, v4, v16
	v_add_f32_e32 v16, v9, v7
	v_sub_f32_e32 v7, v7, v9
	v_add_f32_e32 v5, v5, v15
	v_add_f32_e32 v15, v8, v6
	v_sub_f32_e32 v6, v6, v8
	v_mul_f32_e32 v8, 0xbf06c442, v7
	v_fma_f32 v9, v15, s18, -v8
	v_add_f32_e32 v9, v9, v11
	v_mul_f32_e32 v11, 0xbf06c442, v6
	v_fma_f32 v17, v16, s18, -v11
	v_fmac_f32_e32 v8, 0xbf59a7d5, v15
	v_fmac_f32_e32 v11, 0xbf59a7d5, v16
	v_add_f32_e32 v8, v8, v10
	v_add_f32_e32 v10, v17, v20
	v_mul_f32_e32 v17, 0x3f65296c, v7
	v_add_f32_e32 v41, v41, v45
	v_fma_f32 v45, v18, s19, -v44
	v_fmac_f32_e32 v44, 0xbf7ba420, v18
	v_fmac_f32_e32 v47, 0x3ee437d1, v18
	v_add_f32_e32 v11, v11, v19
	v_fma_f32 v18, v15, s13, -v17
	v_mul_f32_e32 v19, 0x3f65296c, v6
	v_fmac_f32_e32 v17, 0x3ee437d1, v15
	v_fma_f32 v20, v16, s13, -v19
	v_fmac_f32_e32 v19, 0x3ee437d1, v16
	v_add_f32_e32 v17, v17, v21
	v_mul_f32_e32 v21, 0xbf7ee86f, v7
	v_add_f32_e32 v18, v18, v22
	v_add_f32_e32 v19, v19, v23
	v_fma_f32 v22, v15, s12, -v21
	v_mul_f32_e32 v23, 0xbf7ee86f, v6
	v_fmac_f32_e32 v21, 0x3dbcf732, v15
	v_add_f32_e32 v20, v20, v24
	v_fma_f32 v24, v16, s12, -v23
	v_fmac_f32_e32 v23, 0x3dbcf732, v16
	v_add_f32_e32 v21, v21, v25
	v_mul_f32_e32 v25, 0x3f4c4adb, v7
	v_add_f32_e32 v22, v22, v26
	v_add_f32_e32 v23, v23, v27
	v_fma_f32 v26, v15, s17, -v25
	v_mul_f32_e32 v27, 0x3f4c4adb, v6
	v_fmac_f32_e32 v25, 0xbf1a4643, v15
	v_add_f32_e32 v24, v24, v28
	;; [unrolled: 10-line block ×3, first 2 shown]
	v_add_f32_e32 v98, v98, v102
	v_add_f32_e32 v99, v99, v103
	;; [unrolled: 1-line block ×3, first 2 shown]
	v_fma_f32 v32, v16, s16, -v31
	v_fmac_f32_e32 v31, 0x3f6eb680, v16
	v_add_f32_e32 v29, v29, v33
	v_mul_f32_e32 v33, 0xbe3c28d5, v7
	v_add_f32_e32 v93, v93, v97
	v_add_f32_e32 v94, v94, v98
	v_add_f32_e32 v95, v95, v99
	v_add_f32_e32 v30, v30, v35
	v_add_f32_e32 v31, v31, v36
	v_fma_f32 v35, v15, s19, -v33
	v_mul_f32_e32 v36, 0xbe3c28d5, v6
	v_fmac_f32_e32 v33, 0xbf7ba420, v15
	v_add_f32_e32 v100, v100, v104
	v_add_f32_e32 v89, v89, v93
	;; [unrolled: 1-line block ×5, first 2 shown]
	v_fma_f32 v37, v16, s19, -v36
	v_fmac_f32_e32 v36, 0xbf7ba420, v16
	v_add_f32_e32 v33, v33, v38
	v_mul_f32_e32 v38, 0x3f2c7751, v7
	v_add_f32_e32 v96, v96, v100
	v_add_f32_e32 v83, v83, v89
	;; [unrolled: 1-line block ×6, first 2 shown]
	v_fma_f32 v39, v15, s14, -v38
	v_mul_f32_e32 v40, 0x3f2c7751, v6
	v_fmac_f32_e32 v38, 0x3f3d2fb0, v15
	v_mul_f32_e32 v7, 0xbf763a35, v7
	v_add_f32_e32 v92, v92, v96
	v_add_f32_e32 v44, v44, v83
	v_add_f32_e32 v45, v45, v84
	v_add_f32_e32 v46, v46, v87
	v_add_f32_e32 v37, v37, v41
	v_fma_f32 v41, v16, s14, -v40
	v_fmac_f32_e32 v40, 0x3f3d2fb0, v16
	v_add_f32_e32 v38, v38, v42
	v_fma_f32 v42, v15, s15, -v7
	v_mul_f32_e32 v6, 0xbf763a35, v6
	v_fmac_f32_e32 v7, 0xbe8c1d8e, v15
	v_sub_f32_e32 v84, v1, v3
	v_add_f32_e32 v88, v88, v92
	v_add_f32_e32 v39, v39, v43
	;; [unrolled: 1-line block ×4, first 2 shown]
	v_mov_b32_e32 v43, v6
	v_add_f32_e32 v44, v7, v5
	v_fma_f32 v5, v16, s15, -v6
	v_add_f32_e32 v46, v2, v0
	v_mul_f32_e32 v6, 0x3eb8f4ab, v84
	v_add_f32_e32 v47, v47, v88
	v_add_f32_e32 v41, v41, v45
	v_fmac_f32_e32 v43, 0xbe8c1d8e, v16
	v_add_f32_e32 v45, v5, v4
	v_sub_f32_e32 v83, v0, v2
	v_mul_f32_e32 v2, 0xbe3c28d5, v84
	v_fma_f32 v4, v46, s16, -v6
	v_fmac_f32_e32 v6, 0x3f6eb680, v46
	v_add_f32_e32 v43, v43, v47
	v_add_f32_e32 v47, v3, v1
	v_fma_f32 v0, v46, s19, -v2
	v_mul_f32_e32 v1, 0xbe3c28d5, v83
	v_add_f32_e32 v6, v6, v17
	v_mul_f32_e32 v17, 0x3f2c7751, v84
	v_add_f32_e32 v0, v0, v9
	v_fma_f32 v3, v47, s19, -v1
	v_fmac_f32_e32 v1, 0xbf7ba420, v47
	v_mul_f32_e32 v5, 0x3eb8f4ab, v83
	v_mul_f32_e32 v9, 0xbf06c442, v83
	v_fma_f32 v15, v46, s14, -v17
	v_fmac_f32_e32 v17, 0x3f3d2fb0, v46
	v_add_f32_e32 v1, v1, v11
	v_fmac_f32_e32 v2, 0xbf7ba420, v46
	v_add_f32_e32 v3, v3, v10
	v_fma_f32 v7, v47, s16, -v5
	v_mul_f32_e32 v10, 0xbf06c442, v84
	v_fma_f32 v11, v47, s18, -v9
	v_fmac_f32_e32 v9, 0xbf59a7d5, v47
	v_add_f32_e32 v17, v17, v25
	v_mul_f32_e32 v25, 0x3f65296c, v84
	v_add_f32_e32 v2, v2, v8
	v_add_f32_e32 v7, v7, v20
	v_fma_f32 v8, v46, s18, -v10
	v_add_f32_e32 v9, v9, v23
	v_add_f32_e32 v11, v11, v24
	v_mul_f32_e32 v20, 0xbf4c4adb, v83
	v_fma_f32 v23, v46, s13, -v25
	v_mul_f32_e32 v24, 0x3f65296c, v83
	v_fmac_f32_e32 v25, 0x3ee437d1, v46
	v_add_f32_e32 v8, v8, v22
	v_fmac_f32_e32 v10, 0xbf59a7d5, v46
	v_add_f32_e32 v15, v15, v26
	v_fma_f32 v22, v47, s17, -v20
	v_fmac_f32_e32 v20, 0xbf1a4643, v47
	v_fma_f32 v26, v47, s13, -v24
	v_fmac_f32_e32 v24, 0x3ee437d1, v47
	v_add_f32_e32 v25, v25, v33
	v_mul_f32_e32 v33, 0x3f7ee86f, v84
	v_fmac_f32_e32 v5, 0x3f6eb680, v47
	v_add_f32_e32 v10, v10, v21
	v_mul_f32_e32 v16, 0x3f2c7751, v83
	v_mul_f32_e32 v21, 0xbf4c4adb, v84
	v_add_f32_e32 v20, v20, v31
	v_add_f32_e32 v24, v24, v36
	v_fma_f32 v31, v46, s12, -v33
	v_mul_f32_e32 v36, 0x3f7ee86f, v83
	v_fmac_f32_e32 v33, 0x3dbcf732, v46
	v_add_f32_e32 v4, v4, v18
	v_add_f32_e32 v5, v5, v19
	v_fma_f32 v18, v47, s14, -v16
	v_fma_f32 v19, v46, s17, -v21
	v_fmac_f32_e32 v21, 0xbf1a4643, v46
	v_add_f32_e32 v22, v22, v32
	v_add_f32_e32 v23, v23, v35
	v_mov_b32_e32 v32, v36
	v_add_f32_e32 v35, v33, v44
	v_fma_f32 v33, v47, s12, -v36
	v_fmac_f32_e32 v16, 0x3f3d2fb0, v47
	v_add_f32_e32 v18, v18, v28
	v_add_f32_e32 v21, v21, v29
	v_mul_f32_e32 v29, 0xbf763a35, v84
	v_mul_f32_e32 v28, 0xbf763a35, v83
	v_fmac_f32_e32 v32, 0x3dbcf732, v47
	v_add_f32_e32 v36, v33, v45
	v_mul_lo_u16_e32 v33, 17, v86
	v_add_f32_e32 v16, v16, v27
	v_add_f32_e32 v19, v19, v30
	v_fma_f32 v27, v46, s15, -v29
	v_fma_f32 v30, v47, s15, -v28
	v_fmac_f32_e32 v28, 0xbe8c1d8e, v47
	v_fmac_f32_e32 v29, 0xbe8c1d8e, v46
	v_add_f32_e32 v32, v32, v43
	v_lshl_add_u32 v87, v33, 3, v14
	v_add_f32_e32 v26, v26, v37
	v_add_f32_e32 v27, v27, v39
	;; [unrolled: 1-line block ×6, first 2 shown]
	s_barrier
	ds_write2_b64 v87, v[12:13], v[0:1] offset1:1
	ds_write2_b64 v87, v[4:5], v[8:9] offset0:2 offset1:3
	ds_write2_b64 v87, v[15:16], v[19:20] offset0:4 offset1:5
	;; [unrolled: 1-line block ×7, first 2 shown]
	ds_write_b64 v87, v[2:3] offset:128
	v_lshlrev_b32_e32 v32, 7, v86
	s_waitcnt lgkmcnt(0)
	s_barrier
	global_load_dwordx4 v[24:27], v32, s[10:11]
	global_load_dwordx4 v[16:19], v32, s[10:11] offset:16
	global_load_dwordx4 v[8:11], v32, s[10:11] offset:32
	;; [unrolled: 1-line block ×7, first 2 shown]
	ds_read2_b64 v[89:92], v85 offset1:17
	ds_read2_b64 v[35:38], v85 offset0:34 offset1:51
	ds_read2_b64 v[39:42], v85 offset0:68 offset1:85
	;; [unrolled: 1-line block ×7, first 2 shown]
	ds_read_b64 v[32:33], v85 offset:2176
	s_waitcnt vmcnt(7) lgkmcnt(8)
	v_mul_f32_e32 v43, v92, v25
	v_fma_f32 v113, v91, v24, -v43
	v_mul_f32_e32 v91, v91, v25
	s_waitcnt lgkmcnt(7)
	v_mul_f32_e32 v43, v36, v27
	v_fmac_f32_e32 v91, v92, v24
	v_fma_f32 v92, v35, v26, -v43
	v_mul_f32_e32 v114, v35, v27
	s_waitcnt vmcnt(6)
	v_mul_f32_e32 v35, v38, v17
	v_fma_f32 v115, v37, v16, -v35
	s_waitcnt lgkmcnt(6)
	v_mul_f32_e32 v35, v40, v19
	v_mul_f32_e32 v116, v37, v17
	v_fma_f32 v117, v39, v18, -v35
	s_waitcnt vmcnt(5)
	v_mul_f32_e32 v35, v42, v9
	v_fmac_f32_e32 v116, v38, v16
	v_fma_f32 v83, v41, v8, -v35
	s_waitcnt lgkmcnt(5)
	v_mul_f32_e32 v35, v94, v11
	s_waitcnt vmcnt(3) lgkmcnt(4)
	v_mul_f32_e32 v37, v100, v29
	v_mul_f32_e32 v38, v99, v29
	v_fma_f32 v44, v93, v10, -v35
	v_mul_f32_e32 v35, v96, v1
	v_fma_f32 v37, v99, v28, -v37
	v_fmac_f32_e32 v38, v100, v28
	s_waitcnt vmcnt(0) lgkmcnt(0)
	v_mul_f32_e32 v99, v33, v7
	v_mul_f32_e32 v100, v32, v7
	;; [unrolled: 1-line block ×3, first 2 shown]
	v_fma_f32 v39, v95, v0, -v35
	v_mul_f32_e32 v35, v98, v3
	v_fma_f32 v99, v32, v6, -v99
	v_fmac_f32_e32 v100, v33, v6
	v_fmac_f32_e32 v114, v36, v26
	;; [unrolled: 1-line block ×3, first 2 shown]
	v_mul_f32_e32 v47, v41, v9
	v_mul_f32_e32 v43, v93, v11
	;; [unrolled: 1-line block ×3, first 2 shown]
	v_fma_f32 v35, v97, v2, -v35
	v_mul_f32_e32 v36, v97, v3
	v_mul_f32_e32 v41, v102, v31
	;; [unrolled: 1-line block ×7, first 2 shown]
	v_sub_f32_e32 v33, v91, v100
	v_sub_f32_e32 v122, v113, v99
	v_fmac_f32_e32 v47, v42, v8
	v_fmac_f32_e32 v43, v94, v10
	;; [unrolled: 1-line block ×4, first 2 shown]
	v_fma_f32 v41, v101, v30, -v41
	v_mul_f32_e32 v42, v101, v31
	v_fma_f32 v46, v103, v20, -v45
	v_mul_f32_e32 v45, v103, v21
	;; [unrolled: 2-line block ×6, first 2 shown]
	v_add_f32_e32 v32, v113, v99
	v_mul_f32_e32 v101, 0xbeb8f4ab, v33
	v_mul_f32_e32 v103, 0xbf2c7751, v33
	;; [unrolled: 1-line block ×16, first 2 shown]
	v_fmac_f32_e32 v42, v102, v30
	v_fmac_f32_e32 v45, v104, v20
	;; [unrolled: 1-line block ×6, first 2 shown]
	v_fma_f32 v102, v32, s16, -v101
	v_fmac_f32_e32 v101, 0x3f6eb680, v32
	v_fma_f32 v104, v32, s14, -v103
	v_fmac_f32_e32 v103, 0x3f3d2fb0, v32
	;; [unrolled: 2-line block ×8, first 2 shown]
	v_add_f32_e32 v32, v91, v100
	v_mov_b32_e32 v137, v122
	v_fma_f32 v124, v32, s16, -v123
	v_fmac_f32_e32 v123, 0x3f6eb680, v32
	v_fma_f32 v126, v32, s14, -v125
	v_fmac_f32_e32 v125, 0x3f3d2fb0, v32
	;; [unrolled: 2-line block ×7, first 2 shown]
	v_fmac_f32_e32 v137, 0xbf7ba420, v32
	v_fma_f32 v32, v32, s19, -v122
	v_add_f32_e32 v113, v89, v113
	v_add_f32_e32 v91, v90, v91
	;; [unrolled: 1-line block ×63, first 2 shown]
	v_sub_f32_e32 v92, v92, v97
	v_add_f32_e32 v97, v114, v98
	v_sub_f32_e32 v98, v114, v98
	v_add_f32_e32 v32, v32, v99
	v_mul_f32_e32 v99, 0xbf2c7751, v98
	v_add_f32_e32 v33, v33, v100
	v_fma_f32 v100, v91, s14, -v99
	v_add_f32_e32 v100, v100, v102
	v_mul_f32_e32 v102, 0xbf2c7751, v92
	v_fma_f32 v113, v97, s14, -v102
	v_fmac_f32_e32 v99, 0x3f3d2fb0, v91
	v_add_f32_e32 v99, v99, v101
	v_add_f32_e32 v101, v113, v123
	v_mul_f32_e32 v113, 0xbf7ee86f, v98
	v_fma_f32 v114, v91, s12, -v113
	v_fmac_f32_e32 v102, 0x3f3d2fb0, v97
	v_add_f32_e32 v104, v114, v104
	v_mul_f32_e32 v114, 0xbf7ee86f, v92
	v_add_f32_e32 v102, v102, v122
	v_fma_f32 v122, v97, s12, -v114
	v_fmac_f32_e32 v113, 0x3dbcf732, v91
	v_add_f32_e32 v103, v113, v103
	v_add_f32_e32 v113, v122, v125
	v_mul_f32_e32 v122, 0xbf4c4adb, v98
	v_fma_f32 v123, v91, s17, -v122
	v_fmac_f32_e32 v114, 0x3dbcf732, v97
	v_add_f32_e32 v106, v123, v106
	v_mul_f32_e32 v123, 0xbf4c4adb, v92
	v_add_f32_e32 v114, v114, v124
	;; [unrolled: 10-line block ×6, first 2 shown]
	v_fma_f32 v132, v97, s13, -v131
	v_fmac_f32_e32 v130, 0x3ee437d1, v91
	v_mul_f32_e32 v98, 0x3eb8f4ab, v98
	v_mul_f32_e32 v92, 0x3eb8f4ab, v92
	v_add_f32_e32 v119, v130, v119
	v_add_f32_e32 v130, v132, v135
	v_fma_f32 v132, v91, s16, -v98
	v_fmac_f32_e32 v98, 0x3f6eb680, v91
	v_fma_f32 v91, v97, s16, -v92
	v_add_f32_e32 v121, v132, v121
	v_mov_b32_e32 v132, v92
	v_add_f32_e32 v90, v91, v90
	v_add_f32_e32 v91, v115, v95
	v_sub_f32_e32 v92, v115, v95
	v_add_f32_e32 v95, v116, v96
	v_sub_f32_e32 v96, v116, v96
	v_fmac_f32_e32 v131, 0x3ee437d1, v97
	v_fmac_f32_e32 v132, 0x3f6eb680, v97
	v_mul_f32_e32 v97, 0xbf65296c, v96
	v_add_f32_e32 v89, v98, v89
	v_fma_f32 v98, v91, s13, -v97
	v_add_f32_e32 v98, v98, v100
	v_mul_f32_e32 v100, 0xbf65296c, v92
	v_fma_f32 v115, v95, s13, -v100
	v_fmac_f32_e32 v97, 0x3ee437d1, v91
	v_fmac_f32_e32 v100, 0x3ee437d1, v95
	v_add_f32_e32 v97, v97, v99
	v_add_f32_e32 v99, v115, v101
	v_mul_f32_e32 v101, 0xbf4c4adb, v96
	v_add_f32_e32 v100, v100, v102
	v_fma_f32 v102, v91, s17, -v101
	v_add_f32_e32 v102, v102, v104
	v_mul_f32_e32 v104, 0xbf4c4adb, v92
	v_fma_f32 v115, v95, s17, -v104
	v_fmac_f32_e32 v101, 0xbf1a4643, v91
	v_fmac_f32_e32 v104, 0xbf1a4643, v95
	v_add_f32_e32 v101, v101, v103
	v_add_f32_e32 v103, v115, v113
	v_mul_f32_e32 v113, 0x3e3c28d5, v96
	v_add_f32_e32 v104, v104, v114
	v_fma_f32 v114, v91, s19, -v113
	v_add_f32_e32 v106, v114, v106
	v_mul_f32_e32 v114, 0x3e3c28d5, v92
	v_fma_f32 v115, v95, s19, -v114
	v_fmac_f32_e32 v113, 0xbf7ba420, v91
	v_add_f32_e32 v105, v113, v105
	v_add_f32_e32 v113, v115, v122
	v_mul_f32_e32 v115, 0x3f763a35, v96
	v_fma_f32 v116, v91, s15, -v115
	v_add_f32_e32 v108, v116, v108
	v_mul_f32_e32 v116, 0x3f763a35, v92
	v_fma_f32 v122, v95, s15, -v116
	v_fmac_f32_e32 v115, 0xbe8c1d8e, v91
	v_fmac_f32_e32 v114, 0xbf7ba420, v95
	v_add_f32_e32 v107, v115, v107
	v_add_f32_e32 v115, v122, v124
	v_mul_f32_e32 v122, 0x3f2c7751, v96
	v_add_f32_e32 v114, v114, v123
	v_fma_f32 v123, v91, s14, -v122
	v_add_f32_e32 v110, v123, v110
	v_mul_f32_e32 v123, 0x3f2c7751, v92
	v_fma_f32 v124, v95, s14, -v123
	v_fmac_f32_e32 v122, 0x3f3d2fb0, v91
	v_fmac_f32_e32 v116, 0xbe8c1d8e, v95
	v_add_f32_e32 v109, v122, v109
	v_add_f32_e32 v122, v124, v126
	v_mul_f32_e32 v124, 0xbeb8f4ab, v96
	v_add_f32_e32 v116, v116, v125
	;; [unrolled: 10-line block ×3, first 2 shown]
	v_fma_f32 v127, v91, s12, -v126
	v_add_f32_e32 v120, v127, v120
	v_mul_f32_e32 v127, 0xbf7ee86f, v92
	v_fma_f32 v128, v95, s12, -v127
	v_fmac_f32_e32 v126, 0x3dbcf732, v91
	v_mul_f32_e32 v96, 0xbf06c442, v96
	v_mul_f32_e32 v92, 0xbf06c442, v92
	v_add_f32_e32 v119, v126, v119
	v_add_f32_e32 v126, v128, v130
	v_fma_f32 v128, v91, s18, -v96
	v_fmac_f32_e32 v96, 0xbf59a7d5, v91
	v_fma_f32 v91, v95, s18, -v92
	v_add_f32_e32 v121, v128, v121
	v_mov_b32_e32 v128, v92
	v_add_f32_e32 v90, v91, v90
	v_add_f32_e32 v91, v117, v93
	v_sub_f32_e32 v92, v117, v93
	v_add_f32_e32 v93, v118, v94
	v_sub_f32_e32 v94, v118, v94
	v_fmac_f32_e32 v125, 0x3f6eb680, v95
	v_fmac_f32_e32 v127, 0x3dbcf732, v95
	v_fmac_f32_e32 v128, 0xbf59a7d5, v95
	v_mul_f32_e32 v95, 0xbf7ee86f, v94
	v_add_f32_e32 v89, v96, v89
	v_fma_f32 v96, v91, s12, -v95
	v_add_f32_e32 v96, v96, v98
	v_mul_f32_e32 v98, 0xbf7ee86f, v92
	v_fma_f32 v117, v93, s12, -v98
	v_fmac_f32_e32 v95, 0x3dbcf732, v91
	v_fmac_f32_e32 v98, 0x3dbcf732, v93
	v_add_f32_e32 v95, v95, v97
	v_add_f32_e32 v97, v117, v99
	v_mul_f32_e32 v99, 0xbe3c28d5, v94
	v_add_f32_e32 v98, v98, v100
	v_fma_f32 v100, v91, s19, -v99
	v_add_f32_e32 v100, v100, v102
	v_mul_f32_e32 v102, 0xbe3c28d5, v92
	v_fma_f32 v117, v93, s19, -v102
	v_fmac_f32_e32 v99, 0xbf7ba420, v91
	v_fmac_f32_e32 v102, 0xbf7ba420, v93
	v_add_f32_e32 v99, v99, v101
	v_add_f32_e32 v101, v117, v103
	;; [unrolled: 10-line block ×4, first 2 shown]
	v_mul_f32_e32 v115, 0xbf65296c, v94
	v_add_f32_e32 v114, v114, v116
	v_fma_f32 v116, v91, s13, -v115
	v_add_f32_e32 v110, v116, v110
	v_mul_f32_e32 v116, 0xbf65296c, v92
	v_fma_f32 v117, v93, s13, -v116
	v_fmac_f32_e32 v115, 0x3ee437d1, v91
	v_add_f32_e32 v109, v115, v109
	v_add_f32_e32 v115, v117, v122
	v_mul_f32_e32 v117, 0xbf06c442, v94
	v_fma_f32 v118, v91, s18, -v117
	v_add_f32_e32 v112, v118, v112
	v_mul_f32_e32 v118, 0xbf06c442, v92
	v_fma_f32 v122, v93, s18, -v118
	v_fmac_f32_e32 v117, 0xbf59a7d5, v91
	v_fmac_f32_e32 v116, 0x3ee437d1, v93
	v_add_f32_e32 v111, v117, v111
	v_add_f32_e32 v117, v122, v124
	v_mul_f32_e32 v122, 0x3f4c4adb, v94
	v_add_f32_e32 v116, v116, v123
	v_fma_f32 v123, v91, s17, -v122
	v_add_f32_e32 v120, v123, v120
	v_mul_f32_e32 v123, 0x3f4c4adb, v92
	v_fma_f32 v124, v93, s17, -v123
	v_fmac_f32_e32 v122, 0xbf1a4643, v91
	v_mul_f32_e32 v94, 0x3f2c7751, v94
	v_mul_f32_e32 v92, 0x3f2c7751, v92
	v_add_f32_e32 v119, v122, v119
	v_add_f32_e32 v122, v124, v126
	v_fma_f32 v124, v91, s14, -v94
	v_fmac_f32_e32 v94, 0x3f3d2fb0, v91
	v_fma_f32 v91, v93, s14, -v92
	v_add_f32_e32 v90, v91, v90
	v_add_f32_e32 v91, v83, v88
	v_sub_f32_e32 v83, v83, v88
	v_add_f32_e32 v88, v47, v84
	v_sub_f32_e32 v47, v47, v84
	v_mul_f32_e32 v84, 0xbf763a35, v47
	v_add_f32_e32 v121, v124, v121
	v_mov_b32_e32 v124, v92
	v_fma_f32 v92, v91, s15, -v84
	v_fmac_f32_e32 v84, 0xbe8c1d8e, v91
	v_add_f32_e32 v84, v84, v95
	v_mul_f32_e32 v95, 0x3f06c442, v47
	v_fmac_f32_e32 v118, 0xbf59a7d5, v93
	v_fmac_f32_e32 v123, 0xbf1a4643, v93
	v_fmac_f32_e32 v124, 0x3f3d2fb0, v93
	v_add_f32_e32 v92, v92, v96
	v_mul_f32_e32 v93, 0xbf763a35, v83
	v_fma_f32 v96, v91, s18, -v95
	v_fmac_f32_e32 v95, 0xbf59a7d5, v91
	v_add_f32_e32 v89, v94, v89
	v_fma_f32 v94, v88, s15, -v93
	v_add_f32_e32 v95, v95, v99
	v_mul_f32_e32 v99, 0x3f2c7751, v47
	v_fmac_f32_e32 v93, 0xbe8c1d8e, v88
	v_add_f32_e32 v94, v94, v97
	v_add_f32_e32 v96, v96, v100
	v_mul_f32_e32 v97, 0x3f06c442, v83
	v_fma_f32 v100, v91, s14, -v99
	v_fmac_f32_e32 v99, 0x3f3d2fb0, v91
	v_add_f32_e32 v93, v93, v98
	v_fma_f32 v98, v88, s18, -v97
	v_add_f32_e32 v99, v99, v103
	v_mul_f32_e32 v103, 0xbf65296c, v47
	v_fmac_f32_e32 v97, 0xbf59a7d5, v88
	v_add_f32_e32 v98, v98, v101
	;; [unrolled: 10-line block ×3, first 2 shown]
	v_add_f32_e32 v104, v104, v108
	v_mul_f32_e32 v105, 0xbf65296c, v83
	v_fma_f32 v108, v91, s19, -v107
	v_add_f32_e32 v101, v101, v106
	v_fma_f32 v106, v88, s13, -v105
	v_add_f32_e32 v108, v108, v110
	v_mul_f32_e32 v110, 0xbe3c28d5, v83
	v_add_f32_e32 v106, v106, v113
	v_fma_f32 v113, v88, s19, -v110
	v_fmac_f32_e32 v107, 0xbf7ba420, v91
	v_fmac_f32_e32 v105, 0x3ee437d1, v88
	v_add_f32_e32 v107, v107, v109
	v_add_f32_e32 v109, v113, v115
	v_mul_f32_e32 v113, 0x3f7ee86f, v47
	v_add_f32_e32 v105, v105, v114
	v_fma_f32 v114, v91, s12, -v113
	v_add_f32_e32 v112, v114, v112
	v_mul_f32_e32 v114, 0x3f7ee86f, v83
	v_fma_f32 v115, v88, s12, -v114
	v_fmac_f32_e32 v113, 0x3dbcf732, v91
	v_fmac_f32_e32 v110, 0xbf7ba420, v88
	v_add_f32_e32 v111, v113, v111
	v_add_f32_e32 v113, v115, v117
	v_mul_f32_e32 v115, 0xbeb8f4ab, v47
	v_add_f32_e32 v125, v125, v129
	v_add_f32_e32 v110, v110, v116
	v_fma_f32 v116, v91, s16, -v115
	v_mul_f32_e32 v117, 0xbeb8f4ab, v83
	v_mul_f32_e32 v83, 0xbf4c4adb, v83
	v_add_f32_e32 v118, v118, v125
	v_fmac_f32_e32 v114, 0x3dbcf732, v88
	v_add_f32_e32 v116, v116, v120
	v_mov_b32_e32 v120, v83
	v_add_f32_e32 v114, v114, v118
	v_fma_f32 v118, v88, s16, -v117
	v_fmac_f32_e32 v117, 0x3f6eb680, v88
	v_fmac_f32_e32 v115, 0x3f6eb680, v91
	v_mul_f32_e32 v47, 0xbf4c4adb, v47
	v_fmac_f32_e32 v120, 0xbf1a4643, v88
	v_fma_f32 v83, v88, s17, -v83
	v_add_f32_e32 v88, v44, v46
	v_sub_f32_e32 v44, v44, v46
	v_add_f32_e32 v46, v43, v45
	v_sub_f32_e32 v43, v43, v45
	v_add_f32_e32 v115, v115, v119
	v_fma_f32 v119, v91, s17, -v47
	v_fmac_f32_e32 v47, 0xbf1a4643, v91
	v_add_f32_e32 v83, v83, v90
	v_mul_f32_e32 v45, 0xbf4c4adb, v43
	v_mul_f32_e32 v90, 0xbf4c4adb, v44
	v_add_f32_e32 v47, v47, v89
	v_fma_f32 v89, v88, s17, -v45
	v_fma_f32 v91, v46, s17, -v90
	v_fmac_f32_e32 v45, 0xbf1a4643, v88
	v_fmac_f32_e32 v90, 0xbf1a4643, v46
	v_add_f32_e32 v45, v45, v84
	v_add_f32_e32 v84, v91, v94
	v_mul_f32_e32 v91, 0x3f763a35, v43
	v_add_f32_e32 v89, v89, v92
	v_add_f32_e32 v90, v90, v93
	v_fma_f32 v92, v88, s15, -v91
	v_mul_f32_e32 v93, 0x3f763a35, v44
	v_fmac_f32_e32 v91, 0xbe8c1d8e, v88
	v_fma_f32 v94, v46, s15, -v93
	v_fmac_f32_e32 v93, 0xbe8c1d8e, v46
	v_add_f32_e32 v91, v91, v95
	v_mul_f32_e32 v95, 0xbeb8f4ab, v43
	v_add_f32_e32 v92, v92, v96
	v_add_f32_e32 v93, v93, v97
	v_fma_f32 v96, v88, s16, -v95
	v_mul_f32_e32 v97, 0xbeb8f4ab, v44
	v_fmac_f32_e32 v95, 0x3f6eb680, v88
	v_add_f32_e32 v94, v94, v98
	v_fma_f32 v98, v46, s16, -v97
	v_fmac_f32_e32 v97, 0x3f6eb680, v46
	v_add_f32_e32 v95, v95, v99
	v_mul_f32_e32 v99, 0xbf06c442, v43
	v_add_f32_e32 v96, v96, v100
	v_add_f32_e32 v97, v97, v101
	v_fma_f32 v100, v88, s18, -v99
	v_mul_f32_e32 v101, 0xbf06c442, v44
	v_fmac_f32_e32 v99, 0xbf59a7d5, v88
	v_add_f32_e32 v98, v98, v102
	;; [unrolled: 10-line block ×3, first 2 shown]
	v_fma_f32 v106, v46, s12, -v105
	v_add_f32_e32 v103, v103, v107
	v_mul_f32_e32 v107, 0xbf2c7751, v43
	v_add_f32_e32 v104, v104, v108
	v_fmac_f32_e32 v105, 0x3dbcf732, v46
	v_add_f32_e32 v106, v106, v109
	v_fma_f32 v108, v88, s14, -v107
	v_mul_f32_e32 v109, 0xbf2c7751, v44
	v_fmac_f32_e32 v107, 0x3f3d2fb0, v88
	v_add_f32_e32 v105, v105, v110
	v_fma_f32 v110, v46, s14, -v109
	v_add_f32_e32 v107, v107, v111
	v_mul_f32_e32 v111, 0xbe3c28d5, v43
	v_add_f32_e32 v108, v108, v112
	v_add_f32_e32 v110, v110, v113
	v_fma_f32 v112, v88, s19, -v111
	v_mul_f32_e32 v113, 0xbe3c28d5, v44
	v_fmac_f32_e32 v111, 0xbf7ba420, v88
	v_mul_f32_e32 v43, 0x3f65296c, v43
	v_mul_f32_e32 v44, 0x3f65296c, v44
	v_fmac_f32_e32 v109, 0x3f3d2fb0, v46
	v_add_f32_e32 v112, v112, v116
	v_add_f32_e32 v111, v111, v115
	v_fma_f32 v115, v88, s13, -v43
	v_mov_b32_e32 v116, v44
	v_fmac_f32_e32 v43, 0x3ee437d1, v88
	v_add_f32_e32 v109, v109, v114
	v_fma_f32 v114, v46, s19, -v113
	v_fmac_f32_e32 v113, 0xbf7ba420, v46
	v_fmac_f32_e32 v116, 0x3ee437d1, v46
	v_add_f32_e32 v43, v43, v47
	v_fma_f32 v44, v46, s13, -v44
	v_add_f32_e32 v46, v39, v41
	v_add_f32_e32 v47, v40, v42
	v_sub_f32_e32 v39, v39, v41
	v_sub_f32_e32 v40, v40, v42
	v_add_f32_e32 v44, v44, v83
	v_mul_f32_e32 v41, 0xbf06c442, v40
	v_mul_f32_e32 v83, 0xbf06c442, v39
	v_fma_f32 v42, v46, s18, -v41
	v_fma_f32 v88, v47, s18, -v83
	v_fmac_f32_e32 v41, 0xbf59a7d5, v46
	v_add_f32_e32 v41, v41, v45
	v_add_f32_e32 v45, v88, v84
	v_mul_f32_e32 v84, 0x3f65296c, v40
	v_add_f32_e32 v42, v42, v89
	v_fmac_f32_e32 v83, 0xbf59a7d5, v47
	v_fma_f32 v88, v46, s13, -v84
	v_mul_f32_e32 v89, 0x3f65296c, v39
	v_fmac_f32_e32 v84, 0x3ee437d1, v46
	v_add_f32_e32 v83, v83, v90
	v_fma_f32 v90, v47, s13, -v89
	v_fmac_f32_e32 v89, 0x3ee437d1, v47
	v_add_f32_e32 v84, v84, v91
	v_mul_f32_e32 v91, 0xbf7ee86f, v40
	v_add_f32_e32 v88, v88, v92
	v_add_f32_e32 v89, v89, v93
	v_fma_f32 v92, v46, s12, -v91
	v_mul_f32_e32 v93, 0xbf7ee86f, v39
	v_fmac_f32_e32 v91, 0x3dbcf732, v46
	v_add_f32_e32 v90, v90, v94
	v_fma_f32 v94, v47, s12, -v93
	v_fmac_f32_e32 v93, 0x3dbcf732, v47
	v_add_f32_e32 v91, v91, v95
	v_mul_f32_e32 v95, 0x3f4c4adb, v40
	v_add_f32_e32 v92, v92, v96
	v_add_f32_e32 v93, v93, v97
	;; [unrolled: 10-line block ×4, first 2 shown]
	v_add_f32_e32 v100, v100, v104
	v_add_f32_e32 v101, v101, v105
	v_fma_f32 v104, v46, s19, -v103
	v_mul_f32_e32 v105, 0xbe3c28d5, v39
	v_fmac_f32_e32 v103, 0xbf7ba420, v46
	v_add_f32_e32 v127, v127, v131
	v_add_f32_e32 v128, v128, v132
	;; [unrolled: 1-line block ×3, first 2 shown]
	v_fma_f32 v106, v47, s19, -v105
	v_fmac_f32_e32 v105, 0xbf7ba420, v47
	v_add_f32_e32 v103, v103, v107
	v_mul_f32_e32 v107, 0x3f2c7751, v40
	v_add_f32_e32 v123, v123, v127
	v_add_f32_e32 v124, v124, v128
	;; [unrolled: 1-line block ×4, first 2 shown]
	v_fma_f32 v108, v46, s14, -v107
	v_mul_f32_e32 v109, 0x3f2c7751, v39
	v_mul_f32_e32 v39, 0xbf763a35, v39
	v_add_f32_e32 v117, v117, v123
	v_add_f32_e32 v118, v118, v122
	;; [unrolled: 1-line block ×4, first 2 shown]
	v_mov_b32_e32 v112, v39
	v_add_f32_e32 v113, v113, v117
	v_add_f32_e32 v114, v114, v118
	;; [unrolled: 1-line block ×4, first 2 shown]
	v_fma_f32 v110, v47, s14, -v109
	v_fmac_f32_e32 v112, 0xbe8c1d8e, v47
	v_sub_f32_e32 v117, v36, v38
	v_add_f32_e32 v110, v110, v114
	v_add_f32_e32 v112, v112, v116
	;; [unrolled: 1-line block ×3, first 2 shown]
	v_sub_f32_e32 v116, v35, v37
	v_mul_f32_e32 v37, 0xbe3c28d5, v117
	v_add_f32_e32 v119, v119, v121
	v_fmac_f32_e32 v107, 0x3f3d2fb0, v46
	v_mul_f32_e32 v40, 0xbf763a35, v40
	v_fma_f32 v35, v114, s19, -v37
	v_fmac_f32_e32 v37, 0xbf7ba420, v114
	v_add_f32_e32 v115, v115, v119
	v_add_f32_e32 v107, v107, v111
	v_fma_f32 v111, v46, s15, -v40
	v_fma_f32 v39, v47, s15, -v39
	v_add_f32_e32 v37, v37, v41
	v_mul_f32_e32 v41, 0x3eb8f4ab, v117
	v_fmac_f32_e32 v109, 0x3f3d2fb0, v47
	v_add_f32_e32 v111, v111, v115
	v_fmac_f32_e32 v40, 0xbe8c1d8e, v46
	v_add_f32_e32 v47, v39, v44
	v_add_f32_e32 v115, v36, v38
	v_mul_f32_e32 v36, 0xbe3c28d5, v116
	v_fma_f32 v39, v114, s16, -v41
	v_add_f32_e32 v109, v109, v113
	v_add_f32_e32 v113, v40, v43
	v_fma_f32 v38, v115, s19, -v36
	v_fmac_f32_e32 v36, 0xbf7ba420, v115
	v_add_f32_e32 v39, v39, v88
	v_mul_f32_e32 v40, 0x3eb8f4ab, v116
	v_fmac_f32_e32 v41, 0x3f6eb680, v114
	v_mul_f32_e32 v88, 0x3f2c7751, v117
	v_add_f32_e32 v35, v35, v42
	v_add_f32_e32 v36, v36, v83
	;; [unrolled: 1-line block ×3, first 2 shown]
	v_fma_f32 v42, v115, s16, -v40
	v_fmac_f32_e32 v40, 0x3f6eb680, v115
	v_add_f32_e32 v41, v41, v84
	v_mul_f32_e32 v45, 0xbf06c442, v117
	v_fma_f32 v83, v114, s14, -v88
	v_mul_f32_e32 v84, 0x3f2c7751, v116
	v_fmac_f32_e32 v88, 0x3f3d2fb0, v114
	v_add_f32_e32 v40, v40, v89
	v_fma_f32 v43, v114, s18, -v45
	v_mul_f32_e32 v44, 0xbf06c442, v116
	v_fma_f32 v89, v115, s14, -v84
	v_fmac_f32_e32 v84, 0x3f3d2fb0, v115
	v_add_f32_e32 v88, v88, v95
	v_mul_f32_e32 v95, 0x3f65296c, v116
	v_add_f32_e32 v43, v43, v92
	v_fma_f32 v46, v115, s18, -v44
	v_fmac_f32_e32 v45, 0xbf59a7d5, v114
	v_add_f32_e32 v83, v83, v96
	v_add_f32_e32 v84, v84, v97
	v_mul_f32_e32 v92, 0xbf4c4adb, v117
	v_mul_f32_e32 v96, 0x3f65296c, v117
	v_fma_f32 v97, v115, s13, -v95
	v_fmac_f32_e32 v95, 0x3ee437d1, v115
	v_add_f32_e32 v42, v42, v90
	v_fmac_f32_e32 v44, 0xbf59a7d5, v115
	v_add_f32_e32 v45, v45, v91
	v_add_f32_e32 v46, v46, v94
	v_fma_f32 v90, v114, s17, -v92
	v_mul_f32_e32 v91, 0xbf4c4adb, v116
	v_fmac_f32_e32 v92, 0xbf1a4643, v114
	v_fma_f32 v94, v114, s13, -v96
	v_add_f32_e32 v95, v95, v105
	v_fmac_f32_e32 v96, 0x3ee437d1, v114
	v_mul_f32_e32 v105, 0x3f7ee86f, v116
	v_add_f32_e32 v44, v44, v93
	v_add_f32_e32 v90, v90, v100
	v_fma_f32 v93, v115, s17, -v91
	v_fmac_f32_e32 v91, 0xbf1a4643, v115
	v_add_f32_e32 v92, v92, v99
	v_add_f32_e32 v94, v94, v104
	;; [unrolled: 1-line block ×3, first 2 shown]
	v_mul_f32_e32 v100, 0xbf763a35, v117
	v_mul_f32_e32 v99, 0xbf763a35, v116
	;; [unrolled: 1-line block ×3, first 2 shown]
	v_mov_b32_e32 v103, v105
	v_add_f32_e32 v89, v89, v98
	v_add_f32_e32 v91, v91, v101
	;; [unrolled: 1-line block ×3, first 2 shown]
	v_fma_f32 v98, v114, s15, -v100
	v_fma_f32 v101, v115, s15, -v99
	v_fmac_f32_e32 v99, 0xbe8c1d8e, v115
	v_fmac_f32_e32 v100, 0xbe8c1d8e, v114
	v_fma_f32 v102, v114, s12, -v104
	v_fmac_f32_e32 v103, 0x3dbcf732, v115
	v_fmac_f32_e32 v104, 0x3dbcf732, v114
	v_fma_f32 v105, v115, s12, -v105
	v_add_f32_e32 v97, v97, v106
	v_add_f32_e32 v98, v98, v108
	;; [unrolled: 1-line block ×9, first 2 shown]
	ds_write2_b64 v85, v[32:33], v[35:36] offset1:17
	ds_write2_b64 v85, v[39:40], v[43:44] offset0:34 offset1:51
	ds_write2_b64 v85, v[83:84], v[90:91] offset0:68 offset1:85
	;; [unrolled: 1-line block ×7, first 2 shown]
	ds_write_b64 v85, v[37:38] offset:2176
	s_waitcnt lgkmcnt(0)
	s_barrier
	global_load_dwordx2 v[32:33], v34, s[8:9] offset:2312
	global_load_dwordx2 v[39:40], v34, s[6:7] offset:136
	;; [unrolled: 1-line block ×17, first 2 shown]
	ds_read2_b64 v[35:38], v85 offset1:17
	s_waitcnt vmcnt(16) lgkmcnt(0)
	v_mul_f32_e32 v47, v36, v33
	v_mul_f32_e32 v111, v35, v33
	v_fma_f32 v110, v35, v32, -v47
	v_fmac_f32_e32 v111, v36, v32
	ds_read2_b64 v[32:35], v85 offset0:34 offset1:51
	s_waitcnt vmcnt(15)
	v_mul_f32_e32 v36, v38, v40
	v_fma_f32 v36, v37, v39, -v36
	v_mul_f32_e32 v37, v37, v40
	v_fmac_f32_e32 v37, v38, v39
	ds_write2_b64 v85, v[110:111], v[36:37] offset1:17
	s_waitcnt vmcnt(14) lgkmcnt(1)
	v_mul_f32_e32 v36, v33, v42
	v_fma_f32 v110, v32, v41, -v36
	ds_read2_b64 v[36:39], v85 offset0:68 offset1:85
	v_mul_f32_e32 v111, v32, v42
	v_fmac_f32_e32 v111, v33, v41
	s_waitcnt vmcnt(13)
	v_mul_f32_e32 v32, v35, v44
	v_mul_f32_e32 v33, v34, v44
	v_fma_f32 v32, v34, v43, -v32
	v_fmac_f32_e32 v33, v35, v43
	ds_write2_b64 v85, v[110:111], v[32:33] offset0:34 offset1:51
	s_waitcnt vmcnt(12) lgkmcnt(1)
	v_mul_f32_e32 v32, v37, v46
	v_fma_f32 v40, v36, v45, -v32
	ds_read2_b64 v[32:35], v85 offset0:102 offset1:119
	v_mul_f32_e32 v41, v36, v46
	v_fmac_f32_e32 v41, v37, v45
	s_waitcnt vmcnt(11)
	v_mul_f32_e32 v36, v39, v84
	v_mul_f32_e32 v37, v38, v84
	v_fma_f32 v36, v38, v83, -v36
	v_fmac_f32_e32 v37, v39, v83
	ds_write2_b64 v85, v[40:41], v[36:37] offset0:68 offset1:85
	;; [unrolled: 12-line block ×6, first 2 shown]
	s_waitcnt vmcnt(2) lgkmcnt(1)
	v_mul_f32_e32 v36, v33, v105
	v_mul_f32_e32 v37, v32, v105
	v_fma_f32 v36, v32, v104, -v36
	v_fmac_f32_e32 v37, v33, v104
	ds_read_b64 v[32:33], v85 offset:2176
	s_waitcnt vmcnt(1)
	v_mul_f32_e32 v38, v35, v107
	v_mul_f32_e32 v39, v34, v107
	v_fma_f32 v38, v34, v106, -v38
	v_fmac_f32_e32 v39, v35, v106
	s_waitcnt vmcnt(0) lgkmcnt(0)
	v_mul_f32_e32 v34, v33, v109
	v_mul_f32_e32 v35, v32, v109
	v_fma_f32 v34, v32, v108, -v34
	v_fmac_f32_e32 v35, v33, v108
	ds_write2_b64 v85, v[36:37], v[38:39] offset0:238 offset1:255
	ds_write_b64 v85, v[34:35] offset:2176
	s_waitcnt lgkmcnt(0)
	s_barrier
	ds_read2_b64 v[36:39], v85 offset1:17
	ds_read2_b64 v[96:99], v85 offset0:34 offset1:51
	ds_read2_b64 v[106:109], v85 offset0:68 offset1:85
	;; [unrolled: 1-line block ×7, first 2 shown]
	ds_read_b64 v[83:84], v85 offset:2176
	s_waitcnt lgkmcnt(8)
	v_add_f32_e32 v88, v36, v38
	s_waitcnt lgkmcnt(7)
	v_add_f32_e32 v88, v88, v96
	v_add_f32_e32 v89, v37, v39
	v_add_f32_e32 v88, v88, v98
	v_add_f32_e32 v89, v89, v97
	s_waitcnt lgkmcnt(6)
	v_add_f32_e32 v88, v88, v106
	v_add_f32_e32 v89, v89, v99
	v_add_f32_e32 v88, v88, v108
	;; [unrolled: 5-line block ×6, first 2 shown]
	v_add_f32_e32 v89, v89, v111
	s_waitcnt lgkmcnt(1)
	v_add_f32_e32 v88, v88, v114
	s_waitcnt lgkmcnt(0)
	v_sub_f32_e32 v104, v39, v84
	v_add_f32_e32 v89, v89, v113
	v_add_f32_e32 v88, v88, v116
	v_mul_f32_e32 v94, 0xbeb8f4ab, v104
	v_add_f32_e32 v90, v116, v96
	v_add_f32_e32 v92, v117, v97
	v_sub_f32_e32 v91, v96, v116
	v_sub_f32_e32 v93, v97, v117
	v_add_f32_e32 v95, v114, v98
	v_add_f32_e32 v97, v115, v99
	v_sub_f32_e32 v96, v98, v114
	v_sub_f32_e32 v98, v99, v115
	;; [unrolled: 4-line block ×5, first 2 shown]
	v_add_f32_e32 v46, v44, v42
	v_sub_f32_e32 v41, v42, v44
	v_mul_f32_e32 v44, 0xbf2c7751, v104
	v_mul_f32_e32 v112, 0xbf65296c, v104
	;; [unrolled: 1-line block ×7, first 2 shown]
	v_add_f32_e32 v89, v89, v115
	v_add_f32_e32 v102, v83, v38
	v_mov_b32_e32 v122, v104
	v_add_f32_e32 v39, v84, v39
	v_add_f32_e32 v89, v89, v117
	;; [unrolled: 1-line block ×3, first 2 shown]
	v_sub_f32_e32 v42, v43, v45
	v_fma_f32 v43, v102, s16, -v94
	v_fmac_f32_e32 v94, 0x3f6eb680, v102
	v_fma_f32 v45, v102, s14, -v44
	v_fmac_f32_e32 v44, 0x3f3d2fb0, v102
	;; [unrolled: 2-line block ×7, first 2 shown]
	v_fmac_f32_e32 v122, 0xbf7ba420, v102
	v_fma_f32 v102, v102, s19, -v104
	v_mul_f32_e32 v104, 0x3f6eb680, v39
	v_mul_f32_e32 v124, 0x3f3d2fb0, v39
	;; [unrolled: 1-line block ×8, first 2 shown]
	v_sub_f32_e32 v38, v38, v83
	v_mov_b32_e32 v123, v104
	v_mov_b32_e32 v125, v124
	;; [unrolled: 1-line block ×8, first 2 shown]
	v_fmac_f32_e32 v123, 0x3eb8f4ab, v38
	v_fmac_f32_e32 v104, 0xbeb8f4ab, v38
	;; [unrolled: 1-line block ×16, first 2 shown]
	v_add_f32_e32 v38, v88, v83
	v_mul_f32_e32 v83, 0xbf2c7751, v93
	v_mul_f32_e32 v88, 0x3f3d2fb0, v92
	v_add_f32_e32 v123, v37, v123
	v_add_f32_e32 v43, v36, v43
	;; [unrolled: 1-line block ×18, first 2 shown]
	v_fma_f32 v84, v90, s14, -v83
	v_mov_b32_e32 v89, v88
	v_fmac_f32_e32 v88, 0xbf2c7751, v91
	v_add_f32_e32 v94, v36, v94
	v_fmac_f32_e32 v83, 0x3f3d2fb0, v90
	v_add_f32_e32 v43, v84, v43
	v_add_f32_e32 v84, v88, v104
	v_mul_f32_e32 v88, 0xbf7ee86f, v93
	v_add_f32_e32 v45, v36, v45
	v_add_f32_e32 v83, v83, v94
	v_fma_f32 v94, v90, s12, -v88
	v_add_f32_e32 v44, v36, v44
	v_fmac_f32_e32 v88, 0x3dbcf732, v90
	v_add_f32_e32 v45, v94, v45
	v_mul_f32_e32 v94, 0xbf4c4adb, v93
	v_add_f32_e32 v113, v36, v113
	v_add_f32_e32 v44, v88, v44
	v_mul_f32_e32 v88, 0x3dbcf732, v92
	v_fma_f32 v104, v90, s17, -v94
	v_add_f32_e32 v112, v36, v112
	v_add_f32_e32 v114, v36, v114
	;; [unrolled: 1-line block ×11, first 2 shown]
	v_mov_b32_e32 v102, v88
	v_fmac_f32_e32 v88, 0xbf7ee86f, v91
	v_fmac_f32_e32 v94, 0xbf1a4643, v90
	v_add_f32_e32 v104, v104, v113
	v_mul_f32_e32 v113, 0xbe3c28d5, v93
	v_fmac_f32_e32 v89, 0x3f2c7751, v91
	v_add_f32_e32 v88, v88, v124
	v_add_f32_e32 v94, v94, v112
	v_mul_f32_e32 v112, 0xbf1a4643, v92
	v_fma_f32 v124, v90, s19, -v113
	v_add_f32_e32 v89, v89, v123
	v_mov_b32_e32 v123, v112
	v_fmac_f32_e32 v112, 0xbf4c4adb, v91
	v_fmac_f32_e32 v113, 0xbf7ba420, v90
	v_add_f32_e32 v115, v124, v115
	v_mul_f32_e32 v124, 0x3f06c442, v93
	v_fmac_f32_e32 v102, 0x3f7ee86f, v91
	v_add_f32_e32 v112, v112, v126
	v_add_f32_e32 v113, v113, v114
	v_mul_f32_e32 v114, 0xbf7ba420, v92
	v_fma_f32 v126, v90, s18, -v124
	v_add_f32_e32 v102, v102, v125
	;; [unrolled: 11-line block ×3, first 2 shown]
	v_mov_b32_e32 v127, v124
	v_fmac_f32_e32 v124, 0x3f06c442, v91
	v_add_f32_e32 v119, v128, v119
	v_mul_f32_e32 v128, 0x3f65296c, v93
	v_add_f32_e32 v124, v124, v130
	v_fma_f32 v130, v90, s13, -v128
	v_mul_f32_e32 v93, 0x3eb8f4ab, v93
	v_fmac_f32_e32 v126, 0xbe8c1d8e, v90
	v_fmac_f32_e32 v128, 0x3ee437d1, v90
	v_add_f32_e32 v121, v130, v121
	v_mov_b32_e32 v130, v93
	v_fmac_f32_e32 v125, 0x3e3c28d5, v91
	v_fmac_f32_e32 v127, 0xbf06c442, v91
	v_add_f32_e32 v118, v126, v118
	v_mul_f32_e32 v126, 0xbe8c1d8e, v92
	v_add_f32_e32 v120, v128, v120
	v_mul_f32_e32 v128, 0x3ee437d1, v92
	v_fmac_f32_e32 v130, 0x3f6eb680, v90
	v_mul_f32_e32 v92, 0x3f6eb680, v92
	v_fma_f32 v90, v90, s16, -v93
	v_add_f32_e32 v125, v125, v129
	v_add_f32_e32 v127, v127, v131
	v_mov_b32_e32 v129, v126
	v_mov_b32_e32 v131, v128
	v_add_f32_e32 v122, v130, v122
	v_mov_b32_e32 v130, v92
	v_add_f32_e32 v36, v90, v36
	v_mul_f32_e32 v90, 0xbf65296c, v98
	v_fmac_f32_e32 v129, 0xbf763a35, v91
	v_fmac_f32_e32 v126, 0x3f763a35, v91
	;; [unrolled: 1-line block ×6, first 2 shown]
	v_fma_f32 v91, v95, s13, -v90
	v_fmac_f32_e32 v90, 0x3ee437d1, v95
	v_add_f32_e32 v83, v90, v83
	v_mul_f32_e32 v90, 0x3ee437d1, v97
	v_add_f32_e32 v37, v92, v37
	v_mov_b32_e32 v92, v90
	v_fmac_f32_e32 v90, 0xbf65296c, v96
	v_add_f32_e32 v84, v90, v84
	v_mul_f32_e32 v90, 0xbf4c4adb, v98
	v_add_f32_e32 v43, v91, v43
	v_fma_f32 v91, v95, s17, -v90
	v_fmac_f32_e32 v90, 0xbf1a4643, v95
	v_fmac_f32_e32 v92, 0x3f65296c, v96
	v_add_f32_e32 v44, v90, v44
	v_mul_f32_e32 v90, 0xbf1a4643, v97
	v_add_f32_e32 v89, v92, v89
	v_mov_b32_e32 v92, v90
	v_fmac_f32_e32 v90, 0xbf4c4adb, v96
	v_add_f32_e32 v88, v90, v88
	v_mul_f32_e32 v90, 0x3e3c28d5, v98
	v_fmac_f32_e32 v92, 0x3f4c4adb, v96
	v_add_f32_e32 v45, v91, v45
	v_fma_f32 v91, v95, s19, -v90
	v_fmac_f32_e32 v90, 0xbf7ba420, v95
	v_mul_f32_e32 v93, 0xbf7ba420, v97
	v_add_f32_e32 v92, v92, v102
	v_add_f32_e32 v90, v90, v94
	v_mov_b32_e32 v94, v93
	v_fmac_f32_e32 v93, 0x3e3c28d5, v96
	v_mul_f32_e32 v102, 0x3f763a35, v98
	v_add_f32_e32 v91, v91, v104
	v_add_f32_e32 v93, v93, v112
	v_fma_f32 v104, v95, s15, -v102
	v_fmac_f32_e32 v102, 0xbe8c1d8e, v95
	v_mul_f32_e32 v112, 0xbe8c1d8e, v97
	v_add_f32_e32 v102, v102, v113
	v_mov_b32_e32 v113, v112
	v_fmac_f32_e32 v112, 0x3f763a35, v96
	v_add_f32_e32 v112, v112, v114
	v_mul_f32_e32 v114, 0x3f2c7751, v98
	v_add_f32_e32 v104, v104, v115
	v_fma_f32 v115, v95, s14, -v114
	v_fmac_f32_e32 v114, 0x3f3d2fb0, v95
	v_fmac_f32_e32 v94, 0xbe3c28d5, v96
	v_add_f32_e32 v114, v114, v116
	v_mul_f32_e32 v116, 0x3f3d2fb0, v97
	v_add_f32_e32 v94, v94, v123
	v_mov_b32_e32 v123, v116
	v_add_f32_e32 v115, v115, v117
	v_fmac_f32_e32 v116, 0x3f2c7751, v96
	v_mul_f32_e32 v117, 0xbeb8f4ab, v98
	v_add_f32_e32 v116, v116, v124
	v_fma_f32 v124, v95, s16, -v117
	v_fmac_f32_e32 v117, 0x3f6eb680, v95
	v_fmac_f32_e32 v113, 0xbf763a35, v96
	v_add_f32_e32 v117, v117, v118
	v_mul_f32_e32 v118, 0x3f6eb680, v97
	v_add_f32_e32 v126, v126, v132
	v_add_f32_e32 v113, v113, v125
	v_mov_b32_e32 v125, v118
	v_add_f32_e32 v119, v124, v119
	v_fmac_f32_e32 v118, 0xbeb8f4ab, v96
	v_mul_f32_e32 v124, 0xbf7ee86f, v98
	v_add_f32_e32 v118, v118, v126
	v_fma_f32 v126, v95, s12, -v124
	v_mul_f32_e32 v98, 0xbf06c442, v98
	v_fmac_f32_e32 v124, 0x3dbcf732, v95
	v_add_f32_e32 v121, v126, v121
	v_mov_b32_e32 v126, v98
	v_fmac_f32_e32 v123, 0xbf2c7751, v96
	v_add_f32_e32 v120, v124, v120
	v_mul_f32_e32 v124, 0x3dbcf732, v97
	v_fmac_f32_e32 v126, 0xbf59a7d5, v95
	v_mul_f32_e32 v97, 0xbf59a7d5, v97
	v_fma_f32 v95, v95, s18, -v98
	v_add_f32_e32 v123, v123, v127
	v_mov_b32_e32 v127, v124
	v_add_f32_e32 v122, v126, v122
	v_mov_b32_e32 v126, v97
	v_add_f32_e32 v36, v95, v36
	v_mul_f32_e32 v95, 0xbf7ee86f, v103
	v_fmac_f32_e32 v125, 0x3eb8f4ab, v96
	v_fmac_f32_e32 v127, 0x3f7ee86f, v96
	;; [unrolled: 1-line block ×5, first 2 shown]
	v_fma_f32 v96, v99, s12, -v95
	v_fmac_f32_e32 v95, 0x3dbcf732, v99
	v_add_f32_e32 v83, v95, v83
	v_mul_f32_e32 v95, 0x3dbcf732, v101
	v_add_f32_e32 v37, v97, v37
	v_mov_b32_e32 v97, v95
	v_fmac_f32_e32 v95, 0xbf7ee86f, v100
	v_add_f32_e32 v84, v95, v84
	v_mul_f32_e32 v95, 0xbe3c28d5, v103
	v_add_f32_e32 v43, v96, v43
	v_fma_f32 v96, v99, s19, -v95
	v_fmac_f32_e32 v95, 0xbf7ba420, v99
	v_fmac_f32_e32 v97, 0x3f7ee86f, v100
	v_add_f32_e32 v44, v95, v44
	v_mul_f32_e32 v95, 0xbf7ba420, v101
	v_add_f32_e32 v89, v97, v89
	v_mov_b32_e32 v97, v95
	v_fmac_f32_e32 v95, 0xbe3c28d5, v100
	v_add_f32_e32 v88, v95, v88
	v_mul_f32_e32 v95, 0x3f763a35, v103
	v_add_f32_e32 v45, v96, v45
	v_fma_f32 v96, v99, s15, -v95
	v_fmac_f32_e32 v95, 0xbe8c1d8e, v99
	v_fmac_f32_e32 v97, 0x3e3c28d5, v100
	v_add_f32_e32 v90, v95, v90
	v_mul_f32_e32 v95, 0xbe8c1d8e, v101
	v_add_f32_e32 v92, v97, v92
	v_mov_b32_e32 v97, v95
	v_fmac_f32_e32 v95, 0x3f763a35, v100
	v_fmac_f32_e32 v97, 0xbf763a35, v100
	v_add_f32_e32 v93, v95, v93
	v_mul_f32_e32 v95, 0x3eb8f4ab, v103
	v_add_f32_e32 v94, v97, v94
	v_add_f32_e32 v91, v96, v91
	v_fma_f32 v96, v99, s16, -v95
	v_fmac_f32_e32 v95, 0x3f6eb680, v99
	v_mul_f32_e32 v97, 0x3f6eb680, v101
	v_add_f32_e32 v95, v95, v102
	v_mov_b32_e32 v98, v97
	v_fmac_f32_e32 v97, 0x3eb8f4ab, v100
	v_mul_f32_e32 v102, 0xbf65296c, v103
	v_fmac_f32_e32 v98, 0xbeb8f4ab, v100
	v_add_f32_e32 v96, v96, v104
	v_add_f32_e32 v97, v97, v112
	v_fma_f32 v104, v99, s13, -v102
	v_fmac_f32_e32 v102, 0x3ee437d1, v99
	v_mul_f32_e32 v112, 0x3ee437d1, v101
	v_add_f32_e32 v98, v98, v113
	v_add_f32_e32 v102, v102, v114
	v_mov_b32_e32 v113, v112
	v_fmac_f32_e32 v112, 0xbf65296c, v100
	v_mul_f32_e32 v114, 0xbf06c442, v103
	v_add_f32_e32 v104, v104, v115
	v_add_f32_e32 v112, v112, v116
	v_fma_f32 v115, v99, s18, -v114
	v_fmac_f32_e32 v114, 0xbf59a7d5, v99
	v_mul_f32_e32 v116, 0xbf59a7d5, v101
	v_add_f32_e32 v114, v114, v117
	v_mov_b32_e32 v117, v116
	v_fmac_f32_e32 v116, 0xbf06c442, v100
	v_add_f32_e32 v116, v116, v118
	v_mul_f32_e32 v118, 0x3f4c4adb, v103
	v_add_f32_e32 v115, v115, v119
	v_fma_f32 v119, v99, s17, -v118
	v_mul_f32_e32 v103, 0x3f2c7751, v103
	v_fmac_f32_e32 v118, 0xbf1a4643, v99
	v_add_f32_e32 v119, v119, v121
	v_mov_b32_e32 v121, v103
	v_fmac_f32_e32 v113, 0x3f65296c, v100
	v_add_f32_e32 v118, v118, v120
	v_mul_f32_e32 v120, 0xbf1a4643, v101
	v_fmac_f32_e32 v121, 0x3f3d2fb0, v99
	v_mul_f32_e32 v101, 0x3f3d2fb0, v101
	v_fma_f32 v99, v99, s14, -v103
	v_add_f32_e32 v113, v113, v123
	v_mov_b32_e32 v123, v120
	v_add_f32_e32 v121, v121, v122
	v_mov_b32_e32 v122, v101
	v_add_f32_e32 v36, v99, v36
	v_mul_f32_e32 v99, 0xbf763a35, v108
	v_fmac_f32_e32 v117, 0x3f06c442, v100
	v_fmac_f32_e32 v123, 0xbf4c4adb, v100
	;; [unrolled: 1-line block ×5, first 2 shown]
	v_fma_f32 v100, v105, s15, -v99
	v_fmac_f32_e32 v99, 0xbe8c1d8e, v105
	v_add_f32_e32 v83, v99, v83
	v_mul_f32_e32 v99, 0xbe8c1d8e, v107
	v_add_f32_e32 v37, v101, v37
	v_mov_b32_e32 v101, v99
	v_fmac_f32_e32 v99, 0xbf763a35, v106
	v_add_f32_e32 v84, v99, v84
	v_mul_f32_e32 v99, 0x3f06c442, v108
	v_add_f32_e32 v43, v100, v43
	v_fma_f32 v100, v105, s18, -v99
	v_fmac_f32_e32 v99, 0xbf59a7d5, v105
	v_fmac_f32_e32 v101, 0x3f763a35, v106
	v_add_f32_e32 v44, v99, v44
	v_mul_f32_e32 v99, 0xbf59a7d5, v107
	v_add_f32_e32 v89, v101, v89
	v_mov_b32_e32 v101, v99
	v_fmac_f32_e32 v99, 0x3f06c442, v106
	v_add_f32_e32 v88, v99, v88
	v_mul_f32_e32 v99, 0x3f2c7751, v108
	v_add_f32_e32 v45, v100, v45
	v_fma_f32 v100, v105, s14, -v99
	v_fmac_f32_e32 v99, 0x3f3d2fb0, v105
	;; [unrolled: 11-line block ×3, first 2 shown]
	v_fmac_f32_e32 v101, 0xbf2c7751, v106
	v_add_f32_e32 v95, v99, v95
	v_mul_f32_e32 v99, 0x3ee437d1, v107
	v_add_f32_e32 v94, v101, v94
	v_mov_b32_e32 v101, v99
	v_fmac_f32_e32 v99, 0xbf65296c, v106
	v_add_f32_e32 v97, v99, v97
	v_mul_f32_e32 v99, 0xbe3c28d5, v108
	v_fmac_f32_e32 v101, 0x3f65296c, v106
	v_add_f32_e32 v96, v100, v96
	v_fma_f32 v100, v105, s19, -v99
	v_mul_f32_e32 v103, 0x3f7ee86f, v108
	v_add_f32_e32 v98, v101, v98
	v_fmac_f32_e32 v99, 0xbf7ba420, v105
	v_mul_f32_e32 v101, 0xbf7ba420, v107
	v_add_f32_e32 v100, v100, v104
	v_fma_f32 v104, v105, s12, -v103
	v_fmac_f32_e32 v103, 0x3dbcf732, v105
	v_add_f32_e32 v99, v99, v102
	v_mov_b32_e32 v102, v101
	v_fmac_f32_e32 v101, 0xbe3c28d5, v106
	v_add_f32_e32 v103, v103, v114
	v_mul_f32_e32 v114, 0xbeb8f4ab, v108
	v_add_f32_e32 v129, v129, v133
	v_fmac_f32_e32 v102, 0x3e3c28d5, v106
	v_add_f32_e32 v101, v101, v112
	v_mul_f32_e32 v112, 0x3dbcf732, v107
	v_add_f32_e32 v104, v104, v115
	v_fma_f32 v115, v105, s16, -v114
	v_fmac_f32_e32 v114, 0x3f6eb680, v105
	v_mul_f32_e32 v108, 0xbf4c4adb, v108
	v_add_f32_e32 v125, v125, v129
	v_add_f32_e32 v102, v102, v113
	v_mov_b32_e32 v113, v112
	v_fmac_f32_e32 v112, 0x3f7ee86f, v106
	v_add_f32_e32 v114, v114, v118
	v_mov_b32_e32 v118, v108
	v_add_f32_e32 v117, v117, v125
	v_fmac_f32_e32 v113, 0xbf7ee86f, v106
	v_add_f32_e32 v112, v112, v116
	v_mul_f32_e32 v116, 0x3f6eb680, v107
	v_fmac_f32_e32 v118, 0xbf1a4643, v105
	v_mul_f32_e32 v107, 0xbf1a4643, v107
	v_fma_f32 v105, v105, s17, -v108
	v_add_f32_e32 v113, v113, v117
	v_mov_b32_e32 v117, v116
	v_add_f32_e32 v115, v115, v119
	v_mov_b32_e32 v119, v107
	v_add_f32_e32 v36, v105, v36
	v_mul_f32_e32 v105, 0xbf4c4adb, v111
	v_fmac_f32_e32 v117, 0x3eb8f4ab, v106
	v_fmac_f32_e32 v116, 0xbeb8f4ab, v106
	;; [unrolled: 1-line block ×4, first 2 shown]
	v_fma_f32 v106, v109, s17, -v105
	v_fmac_f32_e32 v105, 0xbf1a4643, v109
	v_add_f32_e32 v83, v105, v83
	v_mul_f32_e32 v105, 0xbf1a4643, v110
	v_add_f32_e32 v37, v107, v37
	v_mov_b32_e32 v107, v105
	v_fmac_f32_e32 v105, 0xbf4c4adb, v40
	v_add_f32_e32 v84, v105, v84
	v_mul_f32_e32 v105, 0x3f763a35, v111
	v_add_f32_e32 v43, v106, v43
	v_fma_f32 v106, v109, s15, -v105
	v_fmac_f32_e32 v105, 0xbe8c1d8e, v109
	v_fmac_f32_e32 v107, 0x3f4c4adb, v40
	v_add_f32_e32 v44, v105, v44
	v_mul_f32_e32 v105, 0xbe8c1d8e, v110
	v_add_f32_e32 v89, v107, v89
	v_mov_b32_e32 v107, v105
	v_fmac_f32_e32 v105, 0x3f763a35, v40
	v_add_f32_e32 v88, v105, v88
	v_mul_f32_e32 v105, 0xbeb8f4ab, v111
	v_add_f32_e32 v45, v106, v45
	v_fma_f32 v106, v109, s16, -v105
	v_fmac_f32_e32 v105, 0x3f6eb680, v109
	;; [unrolled: 11-line block ×5, first 2 shown]
	v_add_f32_e32 v104, v106, v104
	v_mul_f32_e32 v106, 0xbe3c28d5, v111
	v_fmac_f32_e32 v107, 0xbf7ee86f, v40
	v_add_f32_e32 v103, v105, v103
	v_mul_f32_e32 v105, 0x3f3d2fb0, v110
	v_fma_f32 v108, v109, s19, -v106
	v_fmac_f32_e32 v106, 0xbf7ba420, v109
	v_mul_f32_e32 v111, 0x3f65296c, v111
	v_add_f32_e32 v102, v107, v102
	v_mov_b32_e32 v107, v105
	v_fmac_f32_e32 v105, 0xbf2c7751, v40
	v_add_f32_e32 v106, v106, v114
	v_mov_b32_e32 v114, v111
	v_fmac_f32_e32 v107, 0x3f2c7751, v40
	v_add_f32_e32 v105, v105, v112
	v_mul_f32_e32 v112, 0xbf7ba420, v110
	v_fmac_f32_e32 v114, 0x3ee437d1, v109
	v_mul_f32_e32 v110, 0x3ee437d1, v110
	v_fma_f32 v109, v109, s13, -v111
	v_add_f32_e32 v107, v107, v113
	v_mov_b32_e32 v113, v112
	v_add_f32_e32 v108, v108, v115
	v_mov_b32_e32 v115, v110
	v_add_f32_e32 v109, v109, v36
	v_fmac_f32_e32 v110, 0x3f65296c, v40
	v_mul_f32_e32 v36, 0xbf06c442, v42
	v_fmac_f32_e32 v113, 0x3e3c28d5, v40
	v_fmac_f32_e32 v112, 0xbe3c28d5, v40
	;; [unrolled: 1-line block ×3, first 2 shown]
	v_add_f32_e32 v40, v110, v37
	v_fma_f32 v37, v46, s18, -v36
	v_fmac_f32_e32 v36, 0xbf59a7d5, v46
	v_add_f32_e32 v83, v36, v83
	v_mul_f32_e32 v36, 0xbf59a7d5, v47
	v_mov_b32_e32 v110, v36
	v_fmac_f32_e32 v36, 0xbf06c442, v41
	v_add_f32_e32 v84, v36, v84
	v_mul_f32_e32 v36, 0x3f65296c, v42
	v_add_f32_e32 v43, v37, v43
	v_fma_f32 v37, v46, s13, -v36
	v_fmac_f32_e32 v36, 0x3ee437d1, v46
	v_fmac_f32_e32 v110, 0x3f06c442, v41
	v_add_f32_e32 v44, v36, v44
	v_mul_f32_e32 v36, 0x3ee437d1, v47
	v_add_f32_e32 v89, v110, v89
	v_mov_b32_e32 v110, v36
	v_fmac_f32_e32 v36, 0x3f65296c, v41
	v_add_f32_e32 v88, v36, v88
	v_mul_f32_e32 v36, 0xbf7ee86f, v42
	v_add_f32_e32 v45, v37, v45
	v_fma_f32 v37, v46, s12, -v36
	v_fmac_f32_e32 v36, 0x3dbcf732, v46
	v_fmac_f32_e32 v110, 0xbf65296c, v41
	v_add_f32_e32 v90, v36, v90
	v_mul_f32_e32 v36, 0x3dbcf732, v47
	v_add_f32_e32 v92, v110, v92
	;; [unrolled: 11-line block ×4, first 2 shown]
	v_mov_b32_e32 v110, v36
	v_fmac_f32_e32 v36, 0xbeb8f4ab, v41
	v_add_f32_e32 v101, v36, v101
	v_mul_f32_e32 v36, 0xbe3c28d5, v42
	v_add_f32_e32 v100, v37, v100
	v_fma_f32 v37, v46, s19, -v36
	v_fmac_f32_e32 v36, 0xbf7ba420, v46
	v_add_f32_e32 v128, v128, v134
	v_fmac_f32_e32 v110, 0x3eb8f4ab, v41
	v_add_f32_e32 v103, v36, v103
	v_mul_f32_e32 v36, 0xbf7ba420, v47
	v_add_f32_e32 v124, v124, v128
	v_add_f32_e32 v102, v110, v102
	v_mov_b32_e32 v110, v36
	v_fmac_f32_e32 v36, 0xbe3c28d5, v41
	v_add_f32_e32 v130, v130, v136
	v_add_f32_e32 v120, v120, v124
	v_fmac_f32_e32 v110, 0x3e3c28d5, v41
	v_add_f32_e32 v105, v36, v105
	v_mul_f32_e32 v36, 0x3f2c7751, v42
	v_add_f32_e32 v131, v131, v135
	v_add_f32_e32 v126, v126, v130
	;; [unrolled: 1-line block ×4, first 2 shown]
	v_fma_f32 v110, v46, s14, -v36
	v_fmac_f32_e32 v36, 0x3f3d2fb0, v46
	v_mul_f32_e32 v111, 0x3f3d2fb0, v47
	v_add_f32_e32 v127, v127, v131
	v_add_f32_e32 v122, v122, v126
	;; [unrolled: 1-line block ×4, first 2 shown]
	v_mov_b32_e32 v36, v111
	v_fmac_f32_e32 v111, 0x3f2c7751, v41
	v_mul_f32_e32 v42, 0xbf763a35, v42
	v_mul_f32_e32 v47, 0xbe8c1d8e, v47
	v_add_f32_e32 v123, v123, v127
	v_add_f32_e32 v118, v118, v121
	;; [unrolled: 1-line block ×5, first 2 shown]
	v_mov_b32_e32 v111, v42
	v_mov_b32_e32 v112, v47
	v_add_f32_e32 v116, v35, v33
	v_add_f32_e32 v117, v117, v123
	;; [unrolled: 1-line block ×4, first 2 shown]
	v_fmac_f32_e32 v111, 0xbe8c1d8e, v46
	v_fmac_f32_e32 v112, 0x3f763a35, v41
	;; [unrolled: 1-line block ×3, first 2 shown]
	v_sub_f32_e32 v118, v33, v35
	v_mul_f32_e32 v35, 0xbf7ba420, v116
	v_add_f32_e32 v113, v113, v117
	v_add_f32_e32 v111, v111, v114
	;; [unrolled: 1-line block ×3, first 2 shown]
	v_fma_f32 v42, v46, s15, -v42
	v_add_f32_e32 v114, v47, v40
	v_add_f32_e32 v115, v34, v32
	v_sub_f32_e32 v117, v32, v34
	v_mul_f32_e32 v32, 0xbe3c28d5, v118
	v_mov_b32_e32 v33, v35
	v_mul_f32_e32 v40, 0x3eb8f4ab, v118
	v_add_f32_e32 v109, v42, v109
	v_fma_f32 v34, v115, s19, -v32
	v_fmac_f32_e32 v33, 0x3e3c28d5, v117
	v_fma_f32 v42, v115, s16, -v40
	v_mul_f32_e32 v47, 0xbf59a7d5, v116
	v_fmac_f32_e32 v32, 0xbf7ba420, v115
	v_add_f32_e32 v33, v33, v89
	v_add_f32_e32 v34, v34, v43
	v_fmac_f32_e32 v35, 0xbe3c28d5, v117
	v_fmac_f32_e32 v40, 0x3f6eb680, v115
	v_mul_f32_e32 v43, 0x3f6eb680, v116
	v_add_f32_e32 v42, v42, v45
	v_mov_b32_e32 v45, v47
	v_mul_f32_e32 v89, 0x3f3d2fb0, v116
	v_fmac_f32_e32 v36, 0xbf2c7751, v41
	v_add_f32_e32 v32, v32, v83
	v_add_f32_e32 v35, v35, v84
	;; [unrolled: 1-line block ×3, first 2 shown]
	v_mov_b32_e32 v41, v43
	v_fmac_f32_e32 v43, 0x3eb8f4ab, v117
	v_mul_f32_e32 v44, 0xbf06c442, v118
	v_fmac_f32_e32 v45, 0x3f06c442, v117
	v_fmac_f32_e32 v47, 0xbf06c442, v117
	v_mul_f32_e32 v83, 0x3f2c7751, v118
	v_mov_b32_e32 v84, v89
	v_fmac_f32_e32 v89, 0x3f2c7751, v117
	v_add_f32_e32 v43, v43, v88
	v_fma_f32 v46, v115, s18, -v44
	v_fmac_f32_e32 v44, 0xbf59a7d5, v115
	v_add_f32_e32 v45, v45, v94
	v_add_f32_e32 v47, v47, v93
	v_fma_f32 v88, v115, s14, -v83
	v_fmac_f32_e32 v83, 0x3f3d2fb0, v115
	v_add_f32_e32 v89, v89, v97
	v_mul_f32_e32 v93, 0xbf1a4643, v116
	v_mul_f32_e32 v94, 0x3f65296c, v118
	;; [unrolled: 1-line block ×3, first 2 shown]
	v_add_f32_e32 v104, v37, v104
	v_fmac_f32_e32 v41, 0xbeb8f4ab, v117
	v_add_f32_e32 v44, v44, v90
	v_add_f32_e32 v46, v46, v91
	;; [unrolled: 1-line block ×4, first 2 shown]
	v_mul_f32_e32 v90, 0xbf4c4adb, v118
	v_mov_b32_e32 v91, v93
	v_fmac_f32_e32 v93, 0xbf4c4adb, v117
	v_fma_f32 v96, v115, s13, -v94
	v_mov_b32_e32 v95, v97
	v_fmac_f32_e32 v97, 0x3f65296c, v117
	v_add_f32_e32 v41, v41, v92
	v_fmac_f32_e32 v84, 0xbf2c7751, v117
	v_fma_f32 v92, v115, s17, -v90
	v_fmac_f32_e32 v90, 0xbf1a4643, v115
	v_fmac_f32_e32 v91, 0x3f4c4adb, v117
	v_add_f32_e32 v93, v93, v101
	v_fmac_f32_e32 v94, 0x3ee437d1, v115
	v_add_f32_e32 v96, v96, v104
	v_add_f32_e32 v97, v97, v105
	v_mul_f32_e32 v101, 0xbe8c1d8e, v116
	v_mul_f32_e32 v104, 0x3f7ee86f, v118
	;; [unrolled: 1-line block ×3, first 2 shown]
	v_add_f32_e32 v84, v84, v98
	v_add_f32_e32 v90, v90, v99
	;; [unrolled: 1-line block ×4, first 2 shown]
	v_mul_f32_e32 v98, 0xbf763a35, v118
	v_mov_b32_e32 v99, v101
	v_mov_b32_e32 v102, v104
	v_mov_b32_e32 v103, v105
	v_add_f32_e32 v113, v36, v113
	v_add_f32_e32 v92, v92, v100
	v_fmac_f32_e32 v95, 0xbf65296c, v117
	v_fma_f32 v100, v115, s15, -v98
	v_fmac_f32_e32 v98, 0xbe8c1d8e, v115
	v_fmac_f32_e32 v99, 0x3f763a35, v117
	;; [unrolled: 1-line block ×5, first 2 shown]
	v_fma_f32 v104, v115, s12, -v104
	v_fmac_f32_e32 v105, 0x3f7ee86f, v117
	v_add_f32_e32 v95, v95, v107
	v_add_f32_e32 v98, v98, v106
	;; [unrolled: 1-line block ×9, first 2 shown]
	s_barrier
	ds_write2_b64 v87, v[38:39], v[32:33] offset1:1
	ds_write2_b64 v87, v[40:41], v[44:45] offset0:2 offset1:3
	ds_write2_b64 v87, v[83:84], v[90:91] offset0:4 offset1:5
	;; [unrolled: 1-line block ×7, first 2 shown]
	ds_write_b64 v87, v[34:35] offset:128
	s_waitcnt lgkmcnt(0)
	s_barrier
	ds_read2_b64 v[32:35], v85 offset1:17
	ds_read2_b64 v[38:41], v85 offset0:34 offset1:51
	ds_read2_b64 v[42:45], v85 offset0:68 offset1:85
	;; [unrolled: 1-line block ×7, first 2 shown]
	ds_read_b64 v[46:47], v85 offset:2176
	s_waitcnt lgkmcnt(8)
	v_mul_f32_e32 v83, v25, v35
	v_mul_f32_e32 v25, v25, v34
	v_fmac_f32_e32 v83, v24, v34
	v_fma_f32 v34, v24, v35, -v25
	s_waitcnt lgkmcnt(7)
	v_mul_f32_e32 v35, v27, v39
	v_fmac_f32_e32 v35, v26, v38
	v_mul_f32_e32 v24, v27, v38
	v_mul_f32_e32 v38, v17, v41
	;; [unrolled: 1-line block ×3, first 2 shown]
	v_fma_f32 v27, v26, v39, -v24
	v_fmac_f32_e32 v38, v16, v40
	v_fma_f32 v39, v16, v41, -v17
	s_waitcnt lgkmcnt(6)
	v_mul_f32_e32 v40, v19, v43
	v_mul_f32_e32 v16, v19, v42
	;; [unrolled: 1-line block ×4, first 2 shown]
	v_fmac_f32_e32 v40, v18, v42
	v_fma_f32 v41, v18, v43, -v16
	v_fmac_f32_e32 v25, v8, v44
	v_fma_f32 v26, v8, v45, -v9
	s_waitcnt lgkmcnt(5)
	v_mul_f32_e32 v18, v11, v88
	v_mul_f32_e32 v8, v11, v87
	v_fmac_f32_e32 v18, v10, v87
	v_fma_f32 v19, v10, v88, -v8
	v_mul_f32_e32 v10, v1, v90
	v_mul_f32_e32 v1, v1, v89
	v_fmac_f32_e32 v10, v0, v89
	v_fma_f32 v11, v0, v90, -v1
	s_waitcnt lgkmcnt(4)
	v_mul_f32_e32 v8, v3, v92
	v_mul_f32_e32 v0, v3, v91
	v_fmac_f32_e32 v8, v2, v91
	v_fma_f32 v2, v2, v92, -v0
	v_mul_f32_e32 v0, v29, v93
	v_fma_f32 v9, v28, v94, -v0
	s_waitcnt lgkmcnt(3)
	v_mul_f32_e32 v0, v31, v95
	v_fma_f32 v17, v30, v96, -v0
	v_mul_f32_e32 v24, v21, v98
	v_mul_f32_e32 v0, v21, v97
	v_fmac_f32_e32 v24, v20, v97
	v_fma_f32 v20, v20, v98, -v0
	s_waitcnt lgkmcnt(2)
	v_mul_f32_e32 v21, v23, v100
	v_mul_f32_e32 v0, v23, v99
	v_fmac_f32_e32 v21, v22, v99
	v_fma_f32 v22, v22, v100, -v0
	v_mul_f32_e32 v23, v13, v102
	v_mul_f32_e32 v0, v13, v101
	v_fmac_f32_e32 v23, v12, v101
	v_fma_f32 v12, v12, v102, -v0
	s_waitcnt lgkmcnt(1)
	v_mul_f32_e32 v13, v15, v104
	v_mul_f32_e32 v0, v15, v103
	v_fmac_f32_e32 v13, v14, v103
	;; [unrolled: 9-line block ×3, first 2 shown]
	v_fma_f32 v6, v6, v47, -v0
	v_add_f32_e32 v0, v32, v83
	v_add_f32_e32 v1, v33, v34
	;; [unrolled: 1-line block ×12, first 2 shown]
	v_mul_f32_e32 v3, v29, v94
	v_add_f32_e32 v0, v0, v10
	v_add_f32_e32 v1, v1, v11
	v_fmac_f32_e32 v3, v28, v93
	v_mul_f32_e32 v16, v31, v96
	v_add_f32_e32 v0, v0, v8
	v_add_f32_e32 v1, v1, v2
	v_fmac_f32_e32 v16, v30, v95
	v_add_f32_e32 v0, v0, v3
	v_add_f32_e32 v1, v1, v9
	v_add_f32_e32 v0, v0, v16
	v_add_f32_e32 v1, v1, v17
	v_add_f32_e32 v0, v0, v24
	v_add_f32_e32 v1, v1, v20
	v_add_f32_e32 v0, v0, v21
	v_add_f32_e32 v1, v1, v22
	v_add_f32_e32 v0, v0, v23
	v_add_f32_e32 v1, v1, v12
	v_add_f32_e32 v0, v0, v13
	v_add_f32_e32 v1, v1, v14
	v_add_f32_e32 v0, v0, v15
	v_add_f32_e32 v1, v1, v4
	v_add_f32_e32 v28, v34, v6
	v_add_f32_e32 v0, v0, v5
	v_add_f32_e32 v1, v1, v6
	v_add_f32_e32 v7, v83, v5
	v_sub_f32_e32 v5, v83, v5
	v_sub_f32_e32 v6, v34, v6
	v_mul_f32_e32 v31, 0x3f6eb680, v28
	v_mul_f32_e32 v44, 0x3f3d2fb0, v28
	;; [unrolled: 1-line block ×9, first 2 shown]
	v_mov_b32_e32 v34, v31
	v_mul_f32_e32 v42, 0xbf2c7751, v6
	v_mov_b32_e32 v45, v44
	v_mul_f32_e32 v46, 0xbf65296c, v6
	;; [unrolled: 2-line block ×7, first 2 shown]
	v_mov_b32_e32 v104, v28
	v_fmac_f32_e32 v28, 0xbe3c28d5, v5
	v_fmac_f32_e32 v34, 0x3eb8f4ab, v5
	;; [unrolled: 1-line block ×15, first 2 shown]
	v_mov_b32_e32 v103, v6
	v_fmac_f32_e32 v104, 0x3e3c28d5, v5
	v_add_f32_e32 v5, v33, v28
	v_add_f32_e32 v28, v27, v4
	v_sub_f32_e32 v4, v27, v4
	v_fma_f32 v30, v7, s16, -v29
	v_fmac_f32_e32 v29, 0x3f6eb680, v7
	v_fma_f32 v43, v7, s14, -v42
	v_fmac_f32_e32 v42, 0x3f3d2fb0, v7
	;; [unrolled: 2-line block ×7, first 2 shown]
	v_fmac_f32_e32 v103, 0xbf7ba420, v7
	v_fma_f32 v6, v7, s19, -v6
	v_add_f32_e32 v7, v35, v15
	v_mul_f32_e32 v27, 0xbf2c7751, v4
	v_add_f32_e32 v29, v32, v29
	v_add_f32_e32 v30, v32, v30
	;; [unrolled: 1-line block ×16, first 2 shown]
	v_fma_f32 v32, v7, s14, -v27
	v_fmac_f32_e32 v27, 0x3f3d2fb0, v7
	v_sub_f32_e32 v15, v35, v15
	v_add_f32_e32 v27, v27, v29
	v_mul_f32_e32 v29, 0x3f3d2fb0, v28
	v_add_f32_e32 v34, v33, v34
	v_add_f32_e32 v31, v33, v31
	;; [unrolled: 1-line block ×15, first 2 shown]
	v_mov_b32_e32 v33, v29
	v_fmac_f32_e32 v29, 0xbf2c7751, v15
	v_add_f32_e32 v29, v29, v31
	v_mul_f32_e32 v31, 0xbf7ee86f, v4
	v_fmac_f32_e32 v33, 0x3f2c7751, v15
	v_add_f32_e32 v30, v32, v30
	v_fma_f32 v32, v7, s12, -v31
	v_fmac_f32_e32 v31, 0x3dbcf732, v7
	v_add_f32_e32 v33, v33, v34
	v_add_f32_e32 v31, v31, v42
	v_mul_f32_e32 v34, 0x3dbcf732, v28
	v_mul_f32_e32 v42, 0xbf4c4adb, v4
	v_mov_b32_e32 v35, v34
	v_add_f32_e32 v32, v32, v43
	v_fmac_f32_e32 v34, 0xbf7ee86f, v15
	v_fma_f32 v43, v7, s17, -v42
	v_fmac_f32_e32 v42, 0xbf1a4643, v7
	v_fmac_f32_e32 v35, 0x3f7ee86f, v15
	v_add_f32_e32 v34, v34, v44
	v_add_f32_e32 v42, v42, v46
	v_mul_f32_e32 v44, 0xbf1a4643, v28
	v_mul_f32_e32 v46, 0xbe3c28d5, v4
	v_add_f32_e32 v35, v35, v45
	v_mov_b32_e32 v45, v44
	v_add_f32_e32 v43, v43, v47
	v_fmac_f32_e32 v44, 0xbf4c4adb, v15
	v_fma_f32 v47, v7, s19, -v46
	v_fmac_f32_e32 v46, 0xbf7ba420, v7
	v_fmac_f32_e32 v45, 0x3f4c4adb, v15
	v_add_f32_e32 v44, v44, v83
	v_add_f32_e32 v46, v46, v87
	v_mul_f32_e32 v83, 0xbf7ba420, v28
	v_mul_f32_e32 v87, 0x3f06c442, v4
	v_add_f32_e32 v45, v45, v84
	;; [unrolled: 11-line block ×4, first 2 shown]
	v_mov_b32_e32 v94, v93
	v_add_f32_e32 v92, v92, v96
	v_fmac_f32_e32 v93, 0x3f763a35, v15
	v_fma_f32 v96, v7, s13, -v95
	v_fmac_f32_e32 v95, 0x3ee437d1, v7
	v_mul_f32_e32 v4, 0x3eb8f4ab, v4
	v_fmac_f32_e32 v94, 0xbf763a35, v15
	v_add_f32_e32 v93, v93, v97
	v_add_f32_e32 v95, v95, v99
	v_mul_f32_e32 v97, 0x3ee437d1, v28
	v_mov_b32_e32 v99, v4
	v_mul_f32_e32 v28, 0x3f6eb680, v28
	v_add_f32_e32 v94, v94, v98
	v_mov_b32_e32 v98, v97
	v_add_f32_e32 v96, v96, v100
	v_fmac_f32_e32 v99, 0x3f6eb680, v7
	v_mov_b32_e32 v100, v28
	v_fma_f32 v4, v7, s16, -v4
	v_add_f32_e32 v7, v39, v14
	v_sub_f32_e32 v14, v39, v14
	v_fmac_f32_e32 v98, 0xbf65296c, v15
	v_fmac_f32_e32 v97, 0x3f65296c, v15
	;; [unrolled: 1-line block ×3, first 2 shown]
	v_add_f32_e32 v4, v4, v6
	v_fmac_f32_e32 v28, 0x3eb8f4ab, v15
	v_add_f32_e32 v6, v38, v13
	v_mul_f32_e32 v15, 0xbf65296c, v14
	v_add_f32_e32 v5, v28, v5
	v_fma_f32 v28, v6, s13, -v15
	v_fmac_f32_e32 v15, 0x3ee437d1, v6
	v_sub_f32_e32 v13, v38, v13
	v_add_f32_e32 v15, v15, v27
	v_mul_f32_e32 v27, 0x3ee437d1, v7
	v_mov_b32_e32 v38, v27
	v_fmac_f32_e32 v27, 0xbf65296c, v13
	v_add_f32_e32 v27, v27, v29
	v_mul_f32_e32 v29, 0xbf4c4adb, v14
	v_add_f32_e32 v28, v28, v30
	v_fma_f32 v30, v6, s17, -v29
	v_fmac_f32_e32 v29, 0xbf1a4643, v6
	v_fmac_f32_e32 v38, 0x3f65296c, v13
	v_add_f32_e32 v29, v29, v31
	v_mul_f32_e32 v31, 0xbf1a4643, v7
	v_add_f32_e32 v33, v38, v33
	v_mov_b32_e32 v38, v31
	v_fmac_f32_e32 v38, 0x3f4c4adb, v13
	v_add_f32_e32 v30, v30, v32
	v_fmac_f32_e32 v31, 0xbf4c4adb, v13
	v_mul_f32_e32 v32, 0x3e3c28d5, v14
	v_add_f32_e32 v35, v38, v35
	v_add_f32_e32 v31, v31, v34
	v_fma_f32 v34, v6, s19, -v32
	v_fmac_f32_e32 v32, 0xbf7ba420, v6
	v_mul_f32_e32 v38, 0xbf7ba420, v7
	v_add_f32_e32 v32, v32, v42
	v_mov_b32_e32 v39, v38
	v_fmac_f32_e32 v38, 0x3e3c28d5, v13
	v_mul_f32_e32 v42, 0x3f763a35, v14
	v_fmac_f32_e32 v39, 0xbe3c28d5, v13
	v_add_f32_e32 v34, v34, v43
	v_add_f32_e32 v38, v38, v44
	v_fma_f32 v43, v6, s15, -v42
	v_fmac_f32_e32 v42, 0xbe8c1d8e, v6
	v_mul_f32_e32 v44, 0xbe8c1d8e, v7
	v_add_f32_e32 v39, v39, v45
	v_add_f32_e32 v42, v42, v46
	v_mov_b32_e32 v45, v44
	v_fmac_f32_e32 v44, 0x3f763a35, v13
	v_mul_f32_e32 v46, 0x3f2c7751, v14
	v_fmac_f32_e32 v45, 0xbf763a35, v13
	v_add_f32_e32 v43, v43, v47
	v_add_f32_e32 v44, v44, v83
	v_fma_f32 v47, v6, s14, -v46
	v_fmac_f32_e32 v46, 0x3f3d2fb0, v6
	v_mul_f32_e32 v83, 0x3f3d2fb0, v7
	v_add_f32_e32 v45, v45, v84
	;; [unrolled: 11-line block ×3, first 2 shown]
	v_add_f32_e32 v87, v87, v91
	v_mov_b32_e32 v90, v89
	v_fmac_f32_e32 v89, 0xbeb8f4ab, v13
	v_mul_f32_e32 v91, 0xbf7ee86f, v14
	v_add_f32_e32 v88, v88, v92
	v_add_f32_e32 v89, v89, v93
	v_fma_f32 v92, v6, s12, -v91
	v_fmac_f32_e32 v91, 0x3dbcf732, v6
	v_mul_f32_e32 v93, 0x3dbcf732, v7
	v_mul_f32_e32 v14, 0xbf06c442, v14
	;; [unrolled: 1-line block ×3, first 2 shown]
	v_add_f32_e32 v91, v91, v95
	v_add_f32_e32 v92, v92, v96
	v_mov_b32_e32 v95, v14
	v_mov_b32_e32 v96, v7
	v_fmac_f32_e32 v7, 0xbf06c442, v13
	v_fmac_f32_e32 v90, 0x3eb8f4ab, v13
	v_fmac_f32_e32 v95, 0xbf59a7d5, v6
	v_fma_f32 v6, v6, s18, -v14
	v_add_f32_e32 v5, v7, v5
	v_add_f32_e32 v7, v41, v12
	v_sub_f32_e32 v12, v41, v12
	v_add_f32_e32 v90, v90, v94
	v_mov_b32_e32 v94, v93
	v_add_f32_e32 v4, v6, v4
	v_add_f32_e32 v6, v40, v23
	v_mul_f32_e32 v14, 0xbf7ee86f, v12
	v_fmac_f32_e32 v94, 0x3f7ee86f, v13
	v_fmac_f32_e32 v93, 0xbf7ee86f, v13
	;; [unrolled: 1-line block ×3, first 2 shown]
	v_sub_f32_e32 v13, v40, v23
	v_fma_f32 v23, v6, s12, -v14
	v_fmac_f32_e32 v14, 0x3dbcf732, v6
	v_add_f32_e32 v14, v14, v15
	v_mul_f32_e32 v15, 0x3dbcf732, v7
	v_mov_b32_e32 v40, v15
	v_fmac_f32_e32 v15, 0xbf7ee86f, v13
	v_add_f32_e32 v15, v15, v27
	v_mul_f32_e32 v27, 0xbe3c28d5, v12
	v_add_f32_e32 v23, v23, v28
	v_fma_f32 v28, v6, s19, -v27
	v_fmac_f32_e32 v27, 0xbf7ba420, v6
	v_fmac_f32_e32 v40, 0x3f7ee86f, v13
	v_add_f32_e32 v27, v27, v29
	v_mul_f32_e32 v29, 0xbf7ba420, v7
	v_add_f32_e32 v33, v40, v33
	v_mov_b32_e32 v40, v29
	v_add_f32_e32 v28, v28, v30
	v_fmac_f32_e32 v29, 0xbe3c28d5, v13
	v_mul_f32_e32 v30, 0x3f763a35, v12
	v_add_f32_e32 v29, v29, v31
	v_fma_f32 v31, v6, s15, -v30
	v_fmac_f32_e32 v30, 0xbe8c1d8e, v6
	v_fmac_f32_e32 v40, 0x3e3c28d5, v13
	v_add_f32_e32 v30, v30, v32
	v_mul_f32_e32 v32, 0xbe8c1d8e, v7
	v_add_f32_e32 v35, v40, v35
	v_mov_b32_e32 v40, v32
	v_fmac_f32_e32 v40, 0xbf763a35, v13
	v_add_f32_e32 v31, v31, v34
	v_fmac_f32_e32 v32, 0x3f763a35, v13
	v_mul_f32_e32 v34, 0x3eb8f4ab, v12
	v_add_f32_e32 v39, v40, v39
	v_add_f32_e32 v32, v32, v38
	v_fma_f32 v38, v6, s16, -v34
	v_fmac_f32_e32 v34, 0x3f6eb680, v6
	v_mul_f32_e32 v40, 0x3f6eb680, v7
	v_add_f32_e32 v34, v34, v42
	v_mov_b32_e32 v41, v40
	v_fmac_f32_e32 v40, 0x3eb8f4ab, v13
	v_mul_f32_e32 v42, 0xbf65296c, v12
	v_fmac_f32_e32 v41, 0xbeb8f4ab, v13
	v_add_f32_e32 v38, v38, v43
	v_add_f32_e32 v40, v40, v44
	v_fma_f32 v43, v6, s13, -v42
	v_fmac_f32_e32 v42, 0x3ee437d1, v6
	v_mul_f32_e32 v44, 0x3ee437d1, v7
	v_add_f32_e32 v41, v41, v45
	v_add_f32_e32 v42, v42, v46
	v_mov_b32_e32 v45, v44
	v_fmac_f32_e32 v44, 0xbf65296c, v13
	v_mul_f32_e32 v46, 0xbf06c442, v12
	v_fmac_f32_e32 v45, 0x3f65296c, v13
	v_add_f32_e32 v43, v43, v47
	v_add_f32_e32 v44, v44, v83
	v_fma_f32 v47, v6, s18, -v46
	v_fmac_f32_e32 v46, 0xbf59a7d5, v6
	v_mul_f32_e32 v83, 0xbf59a7d5, v7
	v_add_f32_e32 v45, v45, v84
	v_add_f32_e32 v46, v46, v87
	v_mov_b32_e32 v84, v83
	v_fmac_f32_e32 v83, 0xbf06c442, v13
	v_mul_f32_e32 v87, 0x3f4c4adb, v12
	v_fmac_f32_e32 v84, 0x3f06c442, v13
	v_add_f32_e32 v47, v47, v88
	v_add_f32_e32 v83, v83, v89
	v_fma_f32 v88, v6, s17, -v87
	v_fmac_f32_e32 v87, 0xbf1a4643, v6
	v_mul_f32_e32 v89, 0xbf1a4643, v7
	v_mul_f32_e32 v12, 0x3f2c7751, v12
	v_mul_f32_e32 v7, 0x3f3d2fb0, v7
	v_add_f32_e32 v84, v84, v90
	v_add_f32_e32 v87, v87, v91
	v_mov_b32_e32 v90, v89
	v_add_f32_e32 v88, v88, v92
	v_mov_b32_e32 v91, v12
	v_mov_b32_e32 v92, v7
	v_fmac_f32_e32 v90, 0xbf4c4adb, v13
	v_fmac_f32_e32 v89, 0x3f4c4adb, v13
	;; [unrolled: 1-line block ×4, first 2 shown]
	v_fma_f32 v6, v6, s14, -v12
	v_fmac_f32_e32 v7, 0x3f2c7751, v13
	v_sub_f32_e32 v13, v26, v22
	v_add_f32_e32 v4, v6, v4
	v_add_f32_e32 v6, v25, v21
	v_sub_f32_e32 v12, v25, v21
	v_mul_f32_e32 v21, 0xbf763a35, v13
	v_add_f32_e32 v5, v7, v5
	v_add_f32_e32 v7, v26, v22
	v_fma_f32 v22, v6, s15, -v21
	v_fmac_f32_e32 v21, 0xbe8c1d8e, v6
	v_add_f32_e32 v14, v21, v14
	v_mul_f32_e32 v21, 0xbe8c1d8e, v7
	v_mov_b32_e32 v25, v21
	v_fmac_f32_e32 v21, 0xbf763a35, v12
	v_add_f32_e32 v15, v21, v15
	v_mul_f32_e32 v21, 0x3f06c442, v13
	v_add_f32_e32 v22, v22, v23
	v_fma_f32 v23, v6, s18, -v21
	v_fmac_f32_e32 v21, 0xbf59a7d5, v6
	v_mul_f32_e32 v26, 0xbf59a7d5, v7
	v_add_f32_e32 v21, v21, v27
	v_mov_b32_e32 v27, v26
	v_add_f32_e32 v23, v23, v28
	v_fmac_f32_e32 v26, 0x3f06c442, v12
	v_mul_f32_e32 v28, 0x3f2c7751, v13
	v_add_f32_e32 v26, v26, v29
	v_fma_f32 v29, v6, s14, -v28
	v_fmac_f32_e32 v28, 0x3f3d2fb0, v6
	v_fmac_f32_e32 v25, 0x3f763a35, v12
	v_add_f32_e32 v28, v28, v30
	v_mul_f32_e32 v30, 0x3f3d2fb0, v7
	v_add_f32_e32 v25, v25, v33
	v_mov_b32_e32 v33, v30
	v_add_f32_e32 v29, v29, v31
	v_fmac_f32_e32 v30, 0x3f2c7751, v12
	v_mul_f32_e32 v31, 0xbf65296c, v13
	v_add_f32_e32 v30, v30, v32
	v_fma_f32 v32, v6, s13, -v31
	v_fmac_f32_e32 v31, 0x3ee437d1, v6
	v_fmac_f32_e32 v27, 0xbf06c442, v12
	;; [unrolled: 1-line block ×3, first 2 shown]
	v_add_f32_e32 v31, v31, v34
	v_mul_f32_e32 v34, 0x3ee437d1, v7
	v_add_f32_e32 v32, v32, v38
	v_mul_f32_e32 v38, 0xbe3c28d5, v13
	v_add_f32_e32 v27, v27, v35
	v_add_f32_e32 v33, v33, v39
	v_mov_b32_e32 v35, v34
	v_fmac_f32_e32 v34, 0xbf65296c, v12
	v_fma_f32 v39, v6, s19, -v38
	v_fmac_f32_e32 v38, 0xbf7ba420, v6
	v_fmac_f32_e32 v35, 0x3f65296c, v12
	v_add_f32_e32 v34, v34, v40
	v_add_f32_e32 v38, v38, v42
	v_mul_f32_e32 v40, 0xbf7ba420, v7
	v_mul_f32_e32 v42, 0x3f7ee86f, v13
	v_add_f32_e32 v35, v35, v41
	v_mov_b32_e32 v41, v40
	v_add_f32_e32 v39, v39, v43
	v_fmac_f32_e32 v40, 0xbe3c28d5, v12
	v_fma_f32 v43, v6, s12, -v42
	v_fmac_f32_e32 v42, 0x3dbcf732, v6
	v_fmac_f32_e32 v41, 0x3e3c28d5, v12
	v_add_f32_e32 v40, v40, v44
	v_add_f32_e32 v42, v42, v46
	v_mul_f32_e32 v44, 0x3dbcf732, v7
	v_mul_f32_e32 v46, 0xbeb8f4ab, v13
	v_add_f32_e32 v41, v41, v45
	v_mov_b32_e32 v45, v44
	v_add_f32_e32 v43, v43, v47
	v_fmac_f32_e32 v44, 0x3f7ee86f, v12
	v_fma_f32 v47, v6, s16, -v46
	v_fmac_f32_e32 v46, 0x3f6eb680, v6
	v_mul_f32_e32 v13, 0xbf4c4adb, v13
	v_fmac_f32_e32 v45, 0xbf7ee86f, v12
	v_add_f32_e32 v44, v44, v83
	v_add_f32_e32 v46, v46, v87
	v_mul_f32_e32 v83, 0x3f6eb680, v7
	v_mov_b32_e32 v87, v13
	v_mul_f32_e32 v7, 0xbf1a4643, v7
	v_add_f32_e32 v45, v45, v84
	v_mov_b32_e32 v84, v83
	v_add_f32_e32 v47, v47, v88
	v_fmac_f32_e32 v87, 0xbf1a4643, v6
	v_mov_b32_e32 v88, v7
	v_fma_f32 v6, v6, s17, -v13
	v_sub_f32_e32 v13, v19, v20
	v_fmac_f32_e32 v84, 0x3eb8f4ab, v12
	v_fmac_f32_e32 v83, 0xbeb8f4ab, v12
	;; [unrolled: 1-line block ×3, first 2 shown]
	v_add_f32_e32 v4, v6, v4
	v_fmac_f32_e32 v7, 0xbf4c4adb, v12
	v_add_f32_e32 v6, v18, v24
	v_sub_f32_e32 v12, v18, v24
	v_mul_f32_e32 v18, 0xbf4c4adb, v13
	v_add_f32_e32 v5, v7, v5
	v_add_f32_e32 v7, v19, v20
	v_fma_f32 v19, v6, s17, -v18
	v_fmac_f32_e32 v18, 0xbf1a4643, v6
	v_add_f32_e32 v14, v18, v14
	v_mul_f32_e32 v18, 0xbf1a4643, v7
	v_mov_b32_e32 v20, v18
	v_fmac_f32_e32 v18, 0xbf4c4adb, v12
	v_add_f32_e32 v15, v18, v15
	v_mul_f32_e32 v18, 0x3f763a35, v13
	v_add_f32_e32 v19, v19, v22
	v_fma_f32 v22, v6, s15, -v18
	v_fmac_f32_e32 v18, 0xbe8c1d8e, v6
	v_add_f32_e32 v18, v18, v21
	v_mul_f32_e32 v21, 0xbe8c1d8e, v7
	v_fmac_f32_e32 v20, 0x3f4c4adb, v12
	v_mov_b32_e32 v24, v21
	v_add_f32_e32 v22, v22, v23
	v_fmac_f32_e32 v21, 0x3f763a35, v12
	v_mul_f32_e32 v23, 0xbeb8f4ab, v13
	v_add_f32_e32 v20, v20, v25
	v_fmac_f32_e32 v24, 0xbf763a35, v12
	v_add_f32_e32 v21, v21, v26
	v_fma_f32 v25, v6, s16, -v23
	v_fmac_f32_e32 v23, 0x3f6eb680, v6
	v_mul_f32_e32 v26, 0x3f6eb680, v7
	v_add_f32_e32 v24, v24, v27
	v_add_f32_e32 v23, v23, v28
	v_mov_b32_e32 v27, v26
	v_fmac_f32_e32 v26, 0xbeb8f4ab, v12
	v_mul_f32_e32 v28, 0xbf06c442, v13
	v_add_f32_e32 v25, v25, v29
	v_add_f32_e32 v26, v26, v30
	v_fma_f32 v29, v6, s18, -v28
	v_fmac_f32_e32 v28, 0xbf59a7d5, v6
	v_mul_f32_e32 v30, 0xbf59a7d5, v7
	v_fmac_f32_e32 v27, 0x3eb8f4ab, v12
	v_add_f32_e32 v28, v28, v31
	v_mov_b32_e32 v31, v30
	v_add_f32_e32 v29, v29, v32
	v_fmac_f32_e32 v30, 0xbf06c442, v12
	v_mul_f32_e32 v32, 0x3f7ee86f, v13
	v_add_f32_e32 v27, v27, v33
	v_fmac_f32_e32 v31, 0x3f06c442, v12
	v_add_f32_e32 v30, v30, v34
	v_fma_f32 v33, v6, s12, -v32
	v_fmac_f32_e32 v32, 0x3dbcf732, v6
	v_mul_f32_e32 v34, 0x3dbcf732, v7
	v_add_f32_e32 v31, v31, v35
	v_add_f32_e32 v32, v32, v38
	v_mov_b32_e32 v35, v34
	v_fmac_f32_e32 v34, 0x3f7ee86f, v12
	v_mul_f32_e32 v38, 0xbf2c7751, v13
	v_fmac_f32_e32 v35, 0xbf7ee86f, v12
	v_add_f32_e32 v33, v33, v39
	v_add_f32_e32 v34, v34, v40
	v_fma_f32 v39, v6, s14, -v38
	v_fmac_f32_e32 v38, 0x3f3d2fb0, v6
	v_mul_f32_e32 v40, 0x3f3d2fb0, v7
	v_add_f32_e32 v35, v35, v41
	v_add_f32_e32 v38, v38, v42
	v_mov_b32_e32 v41, v40
	v_fmac_f32_e32 v40, 0xbf2c7751, v12
	v_mul_f32_e32 v42, 0xbe3c28d5, v13
	v_add_f32_e32 v39, v39, v43
	v_add_f32_e32 v40, v40, v44
	v_fma_f32 v43, v6, s19, -v42
	v_fmac_f32_e32 v42, 0xbf7ba420, v6
	v_mul_f32_e32 v44, 0xbf7ba420, v7
	v_mul_f32_e32 v13, 0x3f65296c, v13
	;; [unrolled: 1-line block ×3, first 2 shown]
	v_fmac_f32_e32 v41, 0x3f2c7751, v12
	v_add_f32_e32 v42, v42, v46
	v_add_f32_e32 v43, v43, v47
	v_mov_b32_e32 v46, v13
	v_mov_b32_e32 v47, v7
	v_fmac_f32_e32 v7, 0x3f65296c, v12
	v_add_f32_e32 v41, v41, v45
	v_mov_b32_e32 v45, v44
	v_fmac_f32_e32 v46, 0x3ee437d1, v6
	v_fma_f32 v6, v6, s13, -v13
	v_add_f32_e32 v5, v7, v5
	v_add_f32_e32 v7, v11, v17
	v_sub_f32_e32 v11, v11, v17
	v_fmac_f32_e32 v45, 0x3e3c28d5, v12
	v_fmac_f32_e32 v44, 0xbe3c28d5, v12
	;; [unrolled: 1-line block ×3, first 2 shown]
	v_add_f32_e32 v4, v6, v4
	v_add_f32_e32 v6, v10, v16
	v_mul_f32_e32 v12, 0xbf06c442, v11
	v_fma_f32 v13, v6, s18, -v12
	v_fmac_f32_e32 v12, 0xbf59a7d5, v6
	v_sub_f32_e32 v10, v10, v16
	v_add_f32_e32 v12, v12, v14
	v_mul_f32_e32 v14, 0xbf59a7d5, v7
	v_mov_b32_e32 v16, v14
	v_fmac_f32_e32 v14, 0xbf06c442, v10
	v_add_f32_e32 v14, v14, v15
	v_mul_f32_e32 v15, 0x3f65296c, v11
	v_fma_f32 v17, v6, s13, -v15
	v_fmac_f32_e32 v15, 0x3ee437d1, v6
	v_fmac_f32_e32 v16, 0x3f06c442, v10
	v_add_f32_e32 v15, v15, v18
	v_mul_f32_e32 v18, 0x3ee437d1, v7
	v_add_f32_e32 v16, v16, v20
	v_add_f32_e32 v13, v13, v19
	v_mov_b32_e32 v19, v18
	v_fmac_f32_e32 v18, 0x3f65296c, v10
	v_mul_f32_e32 v20, 0xbf7ee86f, v11
	v_fmac_f32_e32 v19, 0xbf65296c, v10
	v_add_f32_e32 v17, v17, v22
	v_add_f32_e32 v18, v18, v21
	v_fma_f32 v21, v6, s12, -v20
	v_fmac_f32_e32 v20, 0x3dbcf732, v6
	v_mul_f32_e32 v22, 0x3dbcf732, v7
	v_add_f32_e32 v19, v19, v24
	v_add_f32_e32 v20, v20, v23
	v_mov_b32_e32 v23, v22
	v_fmac_f32_e32 v22, 0xbf7ee86f, v10
	v_mul_f32_e32 v24, 0x3f4c4adb, v11
	v_fmac_f32_e32 v23, 0x3f7ee86f, v10
	v_add_f32_e32 v21, v21, v25
	v_add_f32_e32 v22, v22, v26
	v_fma_f32 v25, v6, s17, -v24
	v_fmac_f32_e32 v24, 0xbf1a4643, v6
	v_mul_f32_e32 v26, 0xbf1a4643, v7
	v_add_f32_e32 v23, v23, v27
	v_add_f32_e32 v24, v24, v28
	v_mov_b32_e32 v27, v26
	v_fmac_f32_e32 v26, 0x3f4c4adb, v10
	v_mul_f32_e32 v28, 0xbeb8f4ab, v11
	v_fmac_f32_e32 v27, 0xbf4c4adb, v10
	v_add_f32_e32 v25, v25, v29
	v_add_f32_e32 v26, v26, v30
	v_fma_f32 v29, v6, s16, -v28
	v_fmac_f32_e32 v28, 0x3f6eb680, v6
	v_mul_f32_e32 v30, 0x3f6eb680, v7
	v_add_f32_e32 v27, v27, v31
	v_add_f32_e32 v28, v28, v32
	v_mov_b32_e32 v31, v30
	v_fmac_f32_e32 v30, 0xbeb8f4ab, v10
	v_mul_f32_e32 v32, 0xbe3c28d5, v11
	v_add_f32_e32 v98, v98, v102
	v_add_f32_e32 v99, v99, v103
	;; [unrolled: 1-line block ×3, first 2 shown]
	v_fmac_f32_e32 v31, 0x3eb8f4ab, v10
	v_add_f32_e32 v29, v29, v33
	v_add_f32_e32 v30, v30, v34
	v_fma_f32 v33, v6, s19, -v32
	v_fmac_f32_e32 v32, 0xbf7ba420, v6
	v_mul_f32_e32 v34, 0xbf7ba420, v7
	v_add_f32_e32 v97, v97, v101
	v_add_f32_e32 v94, v94, v98
	;; [unrolled: 1-line block ×6, first 2 shown]
	v_mov_b32_e32 v35, v34
	v_fmac_f32_e32 v34, 0xbe3c28d5, v10
	v_mul_f32_e32 v38, 0x3f2c7751, v11
	v_add_f32_e32 v93, v93, v97
	v_add_f32_e32 v90, v90, v94
	;; [unrolled: 1-line block ×6, first 2 shown]
	v_fma_f32 v39, v6, s14, -v38
	v_fmac_f32_e32 v38, 0x3f3d2fb0, v6
	v_mul_f32_e32 v40, 0x3f3d2fb0, v7
	v_mul_f32_e32 v11, 0xbf763a35, v11
	;; [unrolled: 1-line block ×3, first 2 shown]
	v_add_f32_e32 v89, v89, v93
	v_add_f32_e32 v84, v84, v90
	v_add_f32_e32 v87, v87, v91
	v_add_f32_e32 v88, v88, v92
	v_fmac_f32_e32 v35, 0x3e3c28d5, v10
	v_add_f32_e32 v38, v38, v42
	v_add_f32_e32 v39, v39, v43
	v_mov_b32_e32 v42, v11
	v_mov_b32_e32 v43, v7
	v_add_f32_e32 v83, v83, v89
	v_add_f32_e32 v45, v45, v84
	;; [unrolled: 1-line block ×5, first 2 shown]
	v_mov_b32_e32 v41, v40
	v_fmac_f32_e32 v42, 0xbe8c1d8e, v6
	v_fmac_f32_e32 v43, 0x3f763a35, v10
	v_sub_f32_e32 v84, v2, v9
	v_add_f32_e32 v44, v44, v83
	v_fmac_f32_e32 v41, 0xbf2c7751, v10
	v_fmac_f32_e32 v40, 0x3f2c7751, v10
	v_add_f32_e32 v42, v42, v46
	v_add_f32_e32 v43, v43, v47
	v_fma_f32 v6, v6, s15, -v11
	v_fmac_f32_e32 v7, 0xbf763a35, v10
	v_add_f32_e32 v46, v8, v3
	v_add_f32_e32 v47, v2, v9
	v_mul_f32_e32 v2, 0xbe3c28d5, v84
	v_add_f32_e32 v41, v41, v45
	v_add_f32_e32 v40, v40, v44
	;; [unrolled: 1-line block ×4, first 2 shown]
	v_sub_f32_e32 v83, v8, v3
	v_fma_f32 v4, v46, s19, -v2
	v_mul_f32_e32 v5, 0xbf7ba420, v47
	v_fmac_f32_e32 v2, 0xbf7ba420, v46
	v_mov_b32_e32 v3, v5
	v_add_f32_e32 v4, v4, v13
	v_fmac_f32_e32 v5, 0xbe3c28d5, v83
	v_mul_f32_e32 v6, 0x3eb8f4ab, v84
	v_mul_f32_e32 v9, 0x3f6eb680, v47
	v_mul_f32_e32 v10, 0xbf06c442, v84
	v_mul_f32_e32 v13, 0xbf59a7d5, v47
	v_add_f32_e32 v2, v2, v12
	v_fmac_f32_e32 v3, 0x3e3c28d5, v83
	v_add_f32_e32 v5, v5, v14
	v_fma_f32 v8, v46, s16, -v6
	v_mov_b32_e32 v7, v9
	v_fmac_f32_e32 v9, 0x3eb8f4ab, v83
	v_fma_f32 v12, v46, s18, -v10
	v_mov_b32_e32 v11, v13
	v_fmac_f32_e32 v13, 0xbf06c442, v83
	v_mul_f32_e32 v14, 0x3f2c7751, v84
	v_add_f32_e32 v3, v3, v16
	v_fmac_f32_e32 v6, 0x3f6eb680, v46
	v_fmac_f32_e32 v7, 0xbeb8f4ab, v83
	v_add_f32_e32 v8, v8, v17
	v_add_f32_e32 v9, v9, v18
	v_fmac_f32_e32 v10, 0xbf59a7d5, v46
	v_add_f32_e32 v12, v12, v21
	v_add_f32_e32 v13, v13, v22
	v_fma_f32 v16, v46, s14, -v14
	v_fmac_f32_e32 v14, 0x3f3d2fb0, v46
	v_mul_f32_e32 v17, 0x3f3d2fb0, v47
	v_mul_f32_e32 v18, 0xbf4c4adb, v84
	;; [unrolled: 1-line block ×4, first 2 shown]
	v_add_f32_e32 v6, v6, v15
	v_add_f32_e32 v7, v7, v19
	;; [unrolled: 1-line block ×4, first 2 shown]
	v_mov_b32_e32 v15, v17
	v_fma_f32 v20, v46, s17, -v18
	v_mov_b32_e32 v19, v21
	v_fma_f32 v24, v46, s13, -v22
	v_fmac_f32_e32 v22, 0x3ee437d1, v46
	v_fmac_f32_e32 v11, 0x3f06c442, v83
	;; [unrolled: 1-line block ×3, first 2 shown]
	v_add_f32_e32 v16, v16, v25
	v_fmac_f32_e32 v17, 0x3f2c7751, v83
	v_fmac_f32_e32 v19, 0x3f4c4adb, v83
	v_add_f32_e32 v20, v20, v29
	v_fmac_f32_e32 v21, 0xbf4c4adb, v83
	v_add_f32_e32 v22, v22, v32
	v_mul_f32_e32 v25, 0x3ee437d1, v47
	v_add_f32_e32 v24, v24, v33
	v_mul_f32_e32 v29, 0xbe8c1d8e, v47
	v_mul_f32_e32 v32, 0x3f7ee86f, v84
	;; [unrolled: 1-line block ×3, first 2 shown]
	v_add_f32_e32 v11, v11, v23
	v_add_f32_e32 v15, v15, v27
	;; [unrolled: 1-line block ×3, first 2 shown]
	v_fmac_f32_e32 v18, 0xbf1a4643, v46
	v_add_f32_e32 v19, v19, v31
	v_add_f32_e32 v21, v21, v30
	v_mov_b32_e32 v23, v25
	v_mul_f32_e32 v26, 0xbf763a35, v84
	v_mov_b32_e32 v27, v29
	v_mov_b32_e32 v30, v32
	;; [unrolled: 1-line block ×3, first 2 shown]
	v_add_f32_e32 v18, v18, v28
	v_fmac_f32_e32 v23, 0xbf65296c, v83
	v_fmac_f32_e32 v25, 0x3f65296c, v83
	v_fma_f32 v28, v46, s15, -v26
	v_fmac_f32_e32 v26, 0xbe8c1d8e, v46
	v_fmac_f32_e32 v27, 0x3f763a35, v83
	v_fmac_f32_e32 v29, 0xbf763a35, v83
	v_fmac_f32_e32 v30, 0x3dbcf732, v46
	v_fmac_f32_e32 v31, 0xbf7ee86f, v83
	v_fma_f32 v32, v46, s12, -v32
	v_fmac_f32_e32 v33, 0x3f7ee86f, v83
	v_add_f32_e32 v23, v23, v35
	v_add_f32_e32 v25, v25, v34
	;; [unrolled: 1-line block ×10, first 2 shown]
	ds_write2_b64 v85, v[0:1], v[2:3] offset1:17
	ds_write2_b64 v85, v[6:7], v[10:11] offset0:34 offset1:51
	ds_write2_b64 v85, v[14:15], v[18:19] offset0:68 offset1:85
	;; [unrolled: 1-line block ×7, first 2 shown]
	ds_write_b64 v85, v[4:5] offset:2176
	s_waitcnt lgkmcnt(0)
	s_barrier
	ds_read2_b64 v[0:3], v85 offset1:17
	v_mad_u64_u32 v[36:37], s[6:7], s2, v64, 0
	s_load_dwordx2 s[6:7], s[4:5], 0x38
	s_mov_b32 s4, 0xd10d4986
	s_waitcnt lgkmcnt(0)
	v_mul_f32_e32 v5, v82, v1
	v_fmac_f32_e32 v5, v81, v0
	v_cvt_f64_f32_e32 v[5:6], v5
	s_mov_b32 s5, 0x3f6c5894
	v_mul_f32_e32 v0, v82, v0
	v_fma_f32 v0, v81, v1, -v0
	v_mul_f64 v[5:6], v[5:6], s[4:5]
	v_cvt_f64_f32_e32 v[0:1], v0
	v_mad_u64_u32 v[7:8], s[8:9], s0, v86, 0
	v_mov_b32_e32 v4, v37
	v_mul_f64 v[0:1], v[0:1], s[4:5]
	v_mad_u64_u32 v[9:10], s[2:3], s3, v64, v[4:5]
	v_mov_b32_e32 v4, v8
	v_mad_u64_u32 v[10:11], s[2:3], s1, v86, v[4:5]
	v_mov_b32_e32 v37, v9
	v_mul_f32_e32 v9, v80, v3
	v_fmac_f32_e32 v9, v79, v2
	v_mov_b32_e32 v8, v10
	v_cvt_f64_f32_e32 v[9:10], v9
	v_cvt_f32_f64_e32 v4, v[5:6]
	v_cvt_f32_f64_e32 v5, v[0:1]
	v_lshlrev_b64 v[0:1], 3, v[36:37]
	v_mul_f32_e32 v2, v80, v2
	v_fma_f32 v2, v79, v3, -v2
	v_mov_b32_e32 v6, s7
	v_cvt_f64_f32_e32 v[2:3], v2
	v_add_co_u32_e32 v11, vcc, s6, v0
	v_addc_co_u32_e32 v12, vcc, v6, v1, vcc
	v_lshlrev_b64 v[0:1], 3, v[7:8]
	v_mul_f64 v[6:7], v[9:10], s[4:5]
	v_add_co_u32_e32 v10, vcc, v11, v0
	v_mul_f64 v[8:9], v[2:3], s[4:5]
	v_addc_co_u32_e32 v11, vcc, v12, v1, vcc
	ds_read2_b64 v[0:3], v85 offset0:34 offset1:51
	global_store_dwordx2 v[10:11], v[4:5], off
	v_cvt_f32_f64_e32 v4, v[6:7]
	s_mulk_i32 s1, 0x88
	s_mul_hi_u32 s2, s0, 0x88
	s_waitcnt lgkmcnt(0)
	v_mul_f32_e32 v6, v76, v1
	v_fmac_f32_e32 v6, v75, v0
	v_mul_f32_e32 v0, v76, v0
	v_fma_f32 v0, v75, v1, -v0
	v_cvt_f64_f32_e32 v[0:1], v0
	v_cvt_f64_f32_e32 v[6:7], v6
	v_cvt_f32_f64_e32 v5, v[8:9]
	s_add_i32 s1, s2, s1
	v_mul_f64 v[0:1], v[0:1], s[4:5]
	v_mul_f64 v[6:7], v[6:7], s[4:5]
	s_mulk_i32 s0, 0x88
	v_mov_b32_e32 v9, s1
	v_add_co_u32_e32 v8, vcc, s0, v10
	v_addc_co_u32_e32 v9, vcc, v11, v9, vcc
	global_store_dwordx2 v[8:9], v[4:5], off
	v_cvt_f32_f64_e32 v5, v[0:1]
	v_mul_f32_e32 v0, v72, v3
	v_fmac_f32_e32 v0, v71, v2
	v_cvt_f32_f64_e32 v4, v[6:7]
	v_cvt_f64_f32_e32 v[6:7], v0
	v_mul_f32_e32 v0, v72, v2
	v_fma_f32 v0, v71, v3, -v0
	v_cvt_f64_f32_e32 v[10:11], v0
	ds_read2_b64 v[0:3], v85 offset0:68 offset1:85
	v_mov_b32_e32 v12, s1
	v_add_co_u32_e32 v8, vcc, s0, v8
	v_addc_co_u32_e32 v9, vcc, v9, v12, vcc
	global_store_dwordx2 v[8:9], v[4:5], off
	v_mul_f64 v[4:5], v[6:7], s[4:5]
	v_mul_f64 v[6:7], v[10:11], s[4:5]
	s_waitcnt lgkmcnt(0)
	v_mul_f32_e32 v10, v78, v1
	v_fmac_f32_e32 v10, v77, v0
	v_mul_f32_e32 v0, v78, v0
	v_fma_f32 v0, v77, v1, -v0
	v_cvt_f64_f32_e32 v[0:1], v0
	v_cvt_f64_f32_e32 v[10:11], v10
	v_cvt_f32_f64_e32 v4, v[4:5]
	v_cvt_f32_f64_e32 v5, v[6:7]
	v_mul_f64 v[0:1], v[0:1], s[4:5]
	v_mul_f64 v[6:7], v[10:11], s[4:5]
	v_mov_b32_e32 v10, s1
	v_add_co_u32_e32 v8, vcc, s0, v8
	v_addc_co_u32_e32 v9, vcc, v9, v10, vcc
	global_store_dwordx2 v[8:9], v[4:5], off
	v_cvt_f32_f64_e32 v5, v[0:1]
	v_mul_f32_e32 v0, v74, v3
	v_fmac_f32_e32 v0, v73, v2
	v_cvt_f32_f64_e32 v4, v[6:7]
	v_cvt_f64_f32_e32 v[6:7], v0
	v_mul_f32_e32 v0, v74, v2
	v_fma_f32 v0, v73, v3, -v0
	v_cvt_f64_f32_e32 v[10:11], v0
	ds_read2_b64 v[0:3], v85 offset0:102 offset1:119
	v_add_co_u32_e32 v8, vcc, s0, v8
	v_addc_co_u32_e32 v9, vcc, v9, v12, vcc
	global_store_dwordx2 v[8:9], v[4:5], off
	v_mul_f64 v[4:5], v[6:7], s[4:5]
	v_mul_f64 v[6:7], v[10:11], s[4:5]
	s_waitcnt lgkmcnt(0)
	v_mul_f32_e32 v10, v68, v1
	v_fmac_f32_e32 v10, v67, v0
	v_mul_f32_e32 v0, v68, v0
	v_fma_f32 v0, v67, v1, -v0
	v_cvt_f64_f32_e32 v[0:1], v0
	v_cvt_f64_f32_e32 v[10:11], v10
	v_cvt_f32_f64_e32 v4, v[4:5]
	v_cvt_f32_f64_e32 v5, v[6:7]
	v_mul_f64 v[0:1], v[0:1], s[4:5]
	v_mul_f64 v[6:7], v[10:11], s[4:5]
	v_mov_b32_e32 v10, s1
	v_add_co_u32_e32 v8, vcc, s0, v8
	v_addc_co_u32_e32 v9, vcc, v9, v10, vcc
	global_store_dwordx2 v[8:9], v[4:5], off
	v_cvt_f32_f64_e32 v5, v[0:1]
	v_mul_f32_e32 v0, v63, v3
	v_fmac_f32_e32 v0, v62, v2
	v_cvt_f32_f64_e32 v4, v[6:7]
	v_cvt_f64_f32_e32 v[6:7], v0
	v_mul_f32_e32 v0, v63, v2
	v_fma_f32 v0, v62, v3, -v0
	v_cvt_f64_f32_e32 v[10:11], v0
	ds_read2_b64 v[0:3], v85 offset0:136 offset1:153
	;; [unrolled: 29-line block ×5, first 2 shown]
	v_add_co_u32_e32 v8, vcc, s0, v8
	v_addc_co_u32_e32 v9, vcc, v9, v12, vcc
	global_store_dwordx2 v[8:9], v[4:5], off
	v_mul_f64 v[4:5], v[6:7], s[4:5]
	v_mul_f64 v[6:7], v[10:11], s[4:5]
	s_waitcnt lgkmcnt(0)
	v_mul_f32_e32 v10, v55, v1
	v_fmac_f32_e32 v10, v54, v0
	v_mul_f32_e32 v0, v55, v0
	v_fma_f32 v0, v54, v1, -v0
	v_cvt_f64_f32_e32 v[0:1], v0
	v_cvt_f64_f32_e32 v[10:11], v10
	v_cvt_f32_f64_e32 v4, v[4:5]
	v_cvt_f32_f64_e32 v5, v[6:7]
	v_mul_f64 v[0:1], v[0:1], s[4:5]
	v_mul_f64 v[6:7], v[10:11], s[4:5]
	v_mov_b32_e32 v10, s1
	v_add_co_u32_e32 v8, vcc, s0, v8
	v_addc_co_u32_e32 v9, vcc, v9, v10, vcc
	global_store_dwordx2 v[8:9], v[4:5], off
	v_cvt_f32_f64_e32 v5, v[0:1]
	v_mul_f32_e32 v0, v51, v3
	v_fmac_f32_e32 v0, v50, v2
	v_mul_f32_e32 v2, v51, v2
	v_fma_f32 v2, v50, v3, -v2
	v_cvt_f32_f64_e32 v4, v[6:7]
	v_cvt_f64_f32_e32 v[0:1], v0
	v_cvt_f64_f32_e32 v[2:3], v2
	ds_read_b64 v[6:7], v85 offset:2176
	v_add_co_u32_e32 v8, vcc, s0, v8
	v_addc_co_u32_e32 v9, vcc, v9, v10, vcc
	v_mul_f64 v[0:1], v[0:1], s[4:5]
	v_mul_f64 v[2:3], v[2:3], s[4:5]
	global_store_dwordx2 v[8:9], v[4:5], off
	s_waitcnt lgkmcnt(0)
	v_mul_f32_e32 v4, v49, v7
	v_fmac_f32_e32 v4, v48, v6
	v_mul_f32_e32 v6, v49, v6
	v_fma_f32 v6, v48, v7, -v6
	v_cvt_f64_f32_e32 v[4:5], v4
	v_cvt_f64_f32_e32 v[6:7], v6
	v_cvt_f32_f64_e32 v0, v[0:1]
	v_cvt_f32_f64_e32 v1, v[2:3]
	v_mul_f64 v[2:3], v[4:5], s[4:5]
	v_mul_f64 v[4:5], v[6:7], s[4:5]
	v_mov_b32_e32 v7, s1
	v_add_co_u32_e32 v6, vcc, s0, v8
	v_addc_co_u32_e32 v7, vcc, v9, v7, vcc
	global_store_dwordx2 v[6:7], v[0:1], off
	v_cvt_f32_f64_e32 v0, v[2:3]
	v_cvt_f32_f64_e32 v1, v[4:5]
	v_mov_b32_e32 v3, s1
	v_add_co_u32_e32 v2, vcc, s0, v6
	v_addc_co_u32_e32 v3, vcc, v7, v3, vcc
	global_store_dwordx2 v[2:3], v[0:1], off
.LBB0_2:
	s_endpgm
	.section	.rodata,"a",@progbits
	.p2align	6, 0x0
	.amdhsa_kernel bluestein_single_back_len289_dim1_sp_op_CI_CI
		.amdhsa_group_segment_fixed_size 16184
		.amdhsa_private_segment_fixed_size 0
		.amdhsa_kernarg_size 104
		.amdhsa_user_sgpr_count 6
		.amdhsa_user_sgpr_private_segment_buffer 1
		.amdhsa_user_sgpr_dispatch_ptr 0
		.amdhsa_user_sgpr_queue_ptr 0
		.amdhsa_user_sgpr_kernarg_segment_ptr 1
		.amdhsa_user_sgpr_dispatch_id 0
		.amdhsa_user_sgpr_flat_scratch_init 0
		.amdhsa_user_sgpr_private_segment_size 0
		.amdhsa_uses_dynamic_stack 0
		.amdhsa_system_sgpr_private_segment_wavefront_offset 0
		.amdhsa_system_sgpr_workgroup_id_x 1
		.amdhsa_system_sgpr_workgroup_id_y 0
		.amdhsa_system_sgpr_workgroup_id_z 0
		.amdhsa_system_sgpr_workgroup_info 0
		.amdhsa_system_vgpr_workitem_id 0
		.amdhsa_next_free_vgpr 138
		.amdhsa_next_free_sgpr 20
		.amdhsa_reserve_vcc 1
		.amdhsa_reserve_flat_scratch 0
		.amdhsa_float_round_mode_32 0
		.amdhsa_float_round_mode_16_64 0
		.amdhsa_float_denorm_mode_32 3
		.amdhsa_float_denorm_mode_16_64 3
		.amdhsa_dx10_clamp 1
		.amdhsa_ieee_mode 1
		.amdhsa_fp16_overflow 0
		.amdhsa_exception_fp_ieee_invalid_op 0
		.amdhsa_exception_fp_denorm_src 0
		.amdhsa_exception_fp_ieee_div_zero 0
		.amdhsa_exception_fp_ieee_overflow 0
		.amdhsa_exception_fp_ieee_underflow 0
		.amdhsa_exception_fp_ieee_inexact 0
		.amdhsa_exception_int_div_zero 0
	.end_amdhsa_kernel
	.text
.Lfunc_end0:
	.size	bluestein_single_back_len289_dim1_sp_op_CI_CI, .Lfunc_end0-bluestein_single_back_len289_dim1_sp_op_CI_CI
                                        ; -- End function
	.section	.AMDGPU.csdata,"",@progbits
; Kernel info:
; codeLenInByte = 22932
; NumSgprs: 24
; NumVgprs: 138
; ScratchSize: 0
; MemoryBound: 0
; FloatMode: 240
; IeeeMode: 1
; LDSByteSize: 16184 bytes/workgroup (compile time only)
; SGPRBlocks: 2
; VGPRBlocks: 34
; NumSGPRsForWavesPerEU: 24
; NumVGPRsForWavesPerEU: 138
; Occupancy: 1
; WaveLimiterHint : 1
; COMPUTE_PGM_RSRC2:SCRATCH_EN: 0
; COMPUTE_PGM_RSRC2:USER_SGPR: 6
; COMPUTE_PGM_RSRC2:TRAP_HANDLER: 0
; COMPUTE_PGM_RSRC2:TGID_X_EN: 1
; COMPUTE_PGM_RSRC2:TGID_Y_EN: 0
; COMPUTE_PGM_RSRC2:TGID_Z_EN: 0
; COMPUTE_PGM_RSRC2:TIDIG_COMP_CNT: 0
	.type	__hip_cuid_d0e282391a55b070,@object ; @__hip_cuid_d0e282391a55b070
	.section	.bss,"aw",@nobits
	.globl	__hip_cuid_d0e282391a55b070
__hip_cuid_d0e282391a55b070:
	.byte	0                               ; 0x0
	.size	__hip_cuid_d0e282391a55b070, 1

	.ident	"AMD clang version 19.0.0git (https://github.com/RadeonOpenCompute/llvm-project roc-6.4.0 25133 c7fe45cf4b819c5991fe208aaa96edf142730f1d)"
	.section	".note.GNU-stack","",@progbits
	.addrsig
	.addrsig_sym __hip_cuid_d0e282391a55b070
	.amdgpu_metadata
---
amdhsa.kernels:
  - .args:
      - .actual_access:  read_only
        .address_space:  global
        .offset:         0
        .size:           8
        .value_kind:     global_buffer
      - .actual_access:  read_only
        .address_space:  global
        .offset:         8
        .size:           8
        .value_kind:     global_buffer
      - .actual_access:  read_only
        .address_space:  global
        .offset:         16
        .size:           8
        .value_kind:     global_buffer
      - .actual_access:  read_only
        .address_space:  global
        .offset:         24
        .size:           8
        .value_kind:     global_buffer
      - .actual_access:  read_only
        .address_space:  global
        .offset:         32
        .size:           8
        .value_kind:     global_buffer
      - .offset:         40
        .size:           8
        .value_kind:     by_value
      - .address_space:  global
        .offset:         48
        .size:           8
        .value_kind:     global_buffer
      - .address_space:  global
        .offset:         56
        .size:           8
        .value_kind:     global_buffer
      - .address_space:  global
        .offset:         64
        .size:           8
        .value_kind:     global_buffer
      - .address_space:  global
        .offset:         72
        .size:           8
        .value_kind:     global_buffer
      - .offset:         80
        .size:           4
        .value_kind:     by_value
      - .address_space:  global
        .offset:         88
        .size:           8
        .value_kind:     global_buffer
      - .address_space:  global
        .offset:         96
        .size:           8
        .value_kind:     global_buffer
    .group_segment_fixed_size: 16184
    .kernarg_segment_align: 8
    .kernarg_segment_size: 104
    .language:       OpenCL C
    .language_version:
      - 2
      - 0
    .max_flat_workgroup_size: 119
    .name:           bluestein_single_back_len289_dim1_sp_op_CI_CI
    .private_segment_fixed_size: 0
    .sgpr_count:     24
    .sgpr_spill_count: 0
    .symbol:         bluestein_single_back_len289_dim1_sp_op_CI_CI.kd
    .uniform_work_group_size: 1
    .uses_dynamic_stack: false
    .vgpr_count:     138
    .vgpr_spill_count: 0
    .wavefront_size: 64
amdhsa.target:   amdgcn-amd-amdhsa--gfx906
amdhsa.version:
  - 1
  - 2
...

	.end_amdgpu_metadata
